;; amdgpu-corpus repo=ROCm/aiter kind=harvested arch=n/a opt=n/a

/root/src/amdgpu-assembly/repos/ROCm__aiter/hsa/gfx942/fmha_v3_bwd/bwd_hd64_bf16_a32_rtz_pssk_group.co:	file format elf64-amdgpu

Disassembly of section .text:

0000000000003e00 <_ZN5aiter37fmha_bwd_hd64_bf16_a32_rtz_pssk_groupE>:
	s_and_b32 s1, s1, 0xffff                                   // 000000003E00: 8601FF01 0000FFFF
	s_load_dwordx2 s[32:33], s[0:1], 0x0                       // 000000003E08: C0060800 00000000
	s_load_dwordx2 s[36:37], s[0:1], 0x10                      // 000000003E10: C0060900 00000010
	s_load_dwordx2 s[40:41], s[0:1], 0x20                      // 000000003E18: C0060A00 00000020
	s_load_dwordx2 s[8:9], s[0:1], 0x30                        // 000000003E20: C0060200 00000030
	s_load_dwordx2 s[12:13], s[0:1], 0x40                      // 000000003E28: C0060300 00000040
	s_load_dwordx2 s[16:17], s[0:1], 0x50                      // 000000003E30: C0060400 00000050
	s_load_dwordx2 s[20:21], s[0:1], 0x60                      // 000000003E38: C0060500 00000060
	s_load_dwordx2 s[24:25], s[0:1], 0x70                      // 000000003E40: C0060600 00000070
	s_load_dwordx2 s[28:29], s[0:1], 0x80                      // 000000003E48: C0060700 00000080
	s_load_dword s47, s[0:1], 0x90                             // 000000003E50: C0020BC0 00000090
	s_load_dword s48, s[0:1], 0xa0                             // 000000003E58: C0020C00 000000A0
	s_load_dword s75, s[0:1], 0xd0                             // 000000003E60: C00212C0 000000D0
	s_load_dword s5, s[0:1], 0xf0                              // 000000003E68: C0020140 000000F0
	s_load_dword s44, s[0:1], 0x100                            // 000000003E70: C0020B00 00000100
	s_load_dword s76, s[0:1], 0x110                            // 000000003E78: C0021300 00000110
	s_load_dword s6, s[0:1], 0x130                             // 000000003E80: C0020180 00000130
	s_load_dword s52, s[0:1], 0x140                            // 000000003E88: C0020D00 00000140
	s_load_dword s77, s[0:1], 0x190                            // 000000003E90: C0021340 00000190
	s_load_dword s7, s[0:1], 0x1b0                             // 000000003E98: C00201C0 000001B0
	s_load_dword s78, s[0:1], 0x1c0                            // 000000003EA0: C0021380 000001C0
	s_load_dword s51, s[0:1], 0x1e0                            // 000000003EA8: C0020CC0 000001E0
	s_load_dword s79, s[0:1], 0x1f0                            // 000000003EB0: C00213C0 000001F0
	s_load_dword s80, s[0:1], 0x210                            // 000000003EB8: C0021400 00000210
	s_load_dword s53, s[0:1], 0x230                            // 000000003EC0: C0020D40 00000230
	s_load_dword s49, s[0:1], 0x240                            // 000000003EC8: C0020C40 00000240
	s_load_dwordx2 s[88:89], s[0:1], 0x250                     // 000000003ED0: C0061600 00000250
	s_load_dwordx2 s[92:93], s[0:1], 0x260                     // 000000003ED8: C0061700 00000260
	s_load_dwordx2 s[96:97], s[0:1], 0x270                     // 000000003EE0: C0061800 00000270
	s_load_dwordx2 s[100:101], s[0:1], 0x280                   // 000000003EE8: C0061900 00000280
	v_lshrrev_b32_e32 v1, 10, v0                               // 000000003EF0: 2002008A
	v_lshrrev_b32_e32 v2, 10, v1                               // 000000003EF4: 2004028A
	v_and_b32_e32 v2, 0x3ff, v2                                // 000000003EF8: 260404FF 000003FF
	v_and_b32_e32 v1, 0x3ff, v1                                // 000000003F00: 260202FF 000003FF
	v_and_b32_e32 v0, 0x3ff, v0                                // 000000003F08: 260000FF 000003FF
	v_lshrrev_b32_e32 v3, 6, v0                                // 000000003F10: 20060086
	v_and_b32_e32 v0, 63, v0                                   // 000000003F14: 260000BF
	s_mov_b32 s2, s2                                           // 000000003F18: BE820002
	s_mov_b32 s3, s3                                           // 000000003F1C: BE830003
	s_mov_b32 s4, s4                                           // 000000003F20: BE840004
	v_readfirstlane_b32 s46, v3                                // 000000003F24: 7E5C0503
	s_waitcnt lgkmcnt(0)                                       // 000000003F28: BF8CC07F
	s_mul_i32 s60, s4, 4                                       // 000000003F2C: 923C8404
	s_add_u32 s88, s60, s88                                    // 000000003F30: 8058583C
	s_addc_u32 s89, 0, s89                                     // 000000003F34: 82595980
	s_load_dwordx2 s[82:83], s[88:89], 0x0                     // 000000003F38: C00614AC 00000000
	s_add_u32 s96, s60, s96                                    // 000000003F40: 8060603C
	s_addc_u32 s97, 0, s97                                     // 000000003F44: 82616180
	s_load_dword s86, s[96:97], 0x0                            // 000000003F48: C00215B0 00000000
	s_add_u32 s92, s60, s92                                    // 000000003F50: 805C5C3C
	s_addc_u32 s93, 0, s93                                     // 000000003F54: 825D5D80
	s_load_dwordx2 s[84:85], s[92:93], 0x0                     // 000000003F58: C006152E 00000000
	s_add_u32 s100, s60, s100                                  // 000000003F60: 8064643C
	s_addc_u32 s101, 0, s101                                   // 000000003F64: 82656580
	s_load_dword s87, s[100:101], 0x0                          // 000000003F68: C00215F2 00000000
	s_mov_b32 s11, 0x20000                                     // 000000003F70: BE8B00FF 00020000
	s_mov_b32 s15, 0x20000                                     // 000000003F78: BE8F00FF 00020000
	s_mov_b32 s19, 0x20000                                     // 000000003F80: BE9300FF 00020000
	s_mov_b32 s23, 0x20000                                     // 000000003F88: BE9700FF 00020000
	s_mov_b32 s27, 0x20000                                     // 000000003F90: BE9B00FF 00020000
	s_mov_b32 s31, 0x20000                                     // 000000003F98: BE9F00FF 00020000
	s_mov_b32 s35, 0x20000                                     // 000000003FA0: BEA300FF 00020000
	s_mov_b32 s39, 0x20000                                     // 000000003FA8: BEA700FF 00020000
	s_mov_b32 s43, 0x20000                                     // 000000003FB0: BEAB00FF 00020000
	s_and_b32 s9, s9, 0xffff                                   // 000000003FB8: 8609FF09 0000FFFF
	s_and_b32 s13, s13, 0xffff                                 // 000000003FC0: 860DFF0D 0000FFFF
	s_and_b32 s17, s17, 0xffff                                 // 000000003FC8: 8611FF11 0000FFFF
	s_and_b32 s21, s21, 0xffff                                 // 000000003FD0: 8615FF15 0000FFFF
	s_and_b32 s25, s25, 0xffff                                 // 000000003FD8: 8619FF19 0000FFFF
	s_and_b32 s29, s29, 0xffff                                 // 000000003FE0: 861DFF1D 0000FFFF
	s_and_b32 s33, s33, 0xffff                                 // 000000003FE8: 8621FF21 0000FFFF
	s_and_b32 s37, s37, 0xffff                                 // 000000003FF0: 8625FF25 0000FFFF
	s_and_b32 s41, s41, 0xffff                                 // 000000003FF8: 8629FF29 0000FFFF
	s_or_b32 s9, s9, 0x40000                                   // 000000004000: 8709FF09 00040000
	s_or_b32 s13, s13, 0x40000                                 // 000000004008: 870DFF0D 00040000
	s_or_b32 s17, s17, 0x40000                                 // 000000004010: 8711FF11 00040000
	s_or_b32 s21, s21, 0x40000                                 // 000000004018: 8715FF15 00040000
	s_or_b32 s25, s25, 0x40000                                 // 000000004020: 8719FF19 00040000
	s_or_b32 s29, s29, 0x40000                                 // 000000004028: 871DFF1D 00040000
	s_or_b32 s33, s33, 0x40000                                 // 000000004030: 8721FF21 00040000
	s_or_b32 s37, s37, 0x40000                                 // 000000004038: 8725FF25 00040000
	s_or_b32 s41, s41, 0x40000                                 // 000000004040: 8729FF29 00040000
	s_waitcnt lgkmcnt(0)                                       // 000000004048: BF8CC07F
	s_mul_i32 s61, s2, 0xc0                                    // 00000000404C: 923DFF02 000000C0
	s_sub_i32 s85, s85, s84                                    // 000000004054: 81D55455
	s_mov_b32 s84, s87                                         // 000000004058: BED40057
	s_sub_i32 s83, s83, s82                                    // 00000000405C: 81D35253
	s_mov_b32 s82, s86                                         // 000000004060: BED20056
	s_cmp_gt_i32 s83, 0                                        // 000000004064: BF028053
	s_cbranch_scc0 label_18B9                                  // 000000004068: BF8417FA
	s_mov_b32 s58, s83                                         // 00000000406C: BEBA0053
	s_mov_b32 s59, 0                                           // 000000004070: BEBB0080
	s_cmp_ge_i32 s61, s85                                      // 000000004074: BF03553D
	s_cbranch_scc1 label_18B9                                  // 000000004078: BF8517F6
	v_accvgpr_write_b32 a159, 0                                // 00000000407C: D3D9409F 18000080
	v_mov_b32_e32 v234, 0                                      // 000000004084: 7FD40280
	s_mov_b32 s71, s3                                          // 000000004088: BEC70003
	v_cvt_f32_u32_e32 v32, s44                                 // 00000000408C: 7E400C2C
	s_sub_i32 s60, 0, s44                                      // 000000004090: 81BC2C80
	v_rcp_iflag_f32_e32 v32, v32                               // 000000004094: 7E404720
	s_nop 0                                                    // 000000004098: BF800000
	v_mul_f32_e32 v32, 0x4f7ffffe, v32                         // 00000000409C: 0A4040FF 4F7FFFFE
	v_cvt_u32_f32_e32 v32, v32                                 // 0000000040A4: 7E400F20
	v_mul_lo_u32 v33, s60, v32                                 // 0000000040A8: D2850021 0002403C
	v_mul_hi_u32 v33, v32, v33                                 // 0000000040B0: D2860021 00024320
	v_add_u32_e32 v32, v32, v33                                // 0000000040B8: 68404320
	v_mul_hi_u32 v32, s71, v32                                 // 0000000040BC: D2860020 00024047
	v_mul_lo_u32 v33, v32, s44                                 // 0000000040C4: D2850021 00005920
	v_sub_u32_e32 v35, s71, v33                                // 0000000040CC: 6A464247
	v_add_u32_e32 v34, 1, v32                                  // 0000000040D0: 68444081
	v_cmp_le_u32_e32 vcc, s44, v35                             // 0000000040D4: 7D96462C
	v_subrev_u32_e32 v33, s44, v35                             // 0000000040D8: 6C42462C
	s_nop 0                                                    // 0000000040DC: BF800000
	v_cndmask_b32_e32 v32, v32, v34, vcc                       // 0000000040E0: 00404520
	v_cndmask_b32_e32 v35, v35, v33, vcc                       // 0000000040E4: 00464323
	v_add_u32_e32 v33, 1, v32                                  // 0000000040E8: 68424081
	v_cmp_le_u32_e32 vcc, s44, v35                             // 0000000040EC: 7D96462C
	s_nop 1                                                    // 0000000040F0: BF800001
	v_cndmask_b32_e32 v35, v32, v33, vcc                       // 0000000040F4: 00464320
	s_nop 3                                                    // 0000000040F8: BF800003
	v_readfirstlane_b32 s45, v35                               // 0000000040FC: 7E5A0523
	s_nop 3                                                    // 000000004100: BF800003
	s_mov_b32 s88, s8                                          // 000000004104: BED80008
	s_mov_b32 s90, s12                                         // 000000004108: BEDA000C
	s_mov_b32 s92, s16                                         // 00000000410C: BEDC0010
	s_mov_b32 s94, s20                                         // 000000004110: BEDE0014
	s_mov_b32 s89, s9                                          // 000000004114: BED90009
	s_mov_b32 s91, s13                                         // 000000004118: BEDB000D
	s_mov_b32 s93, s17                                         // 00000000411C: BEDD0011
	s_mov_b32 s95, s21                                         // 000000004120: BEDF0015
	v_mov_b32_e32 v32, s47                                     // 000000004124: 7E40022F
	v_mul_f32_e32 v32, s48, v32                                // 000000004128: 0A404030
	s_mov_b32 s66, 0                                           // 00000000412C: BEC20080
	s_mov_b32 s63, 0x5040100                                   // 000000004130: BEBF00FF 05040100
	s_mov_b32 s64, 0x7060302                                   // 000000004138: BEC000FF 07060302
	v_readfirstlane_b32 s57, v32                               // 000000004140: 7E720520
	v_mov_b32_e32 v34, 0x3020706                               // 000000004144: 7E4402FF 03020706
	v_mov_b32_e32 v32, s63                                     // 00000000414C: 7E40023F
	v_and_b32_e32 v33, 1, v0                                   // 000000004150: 26420081
	v_cmp_eq_u32_e32 vcc, 1, v33                               // 000000004154: 7D944281
	s_mov_b32 s67, 0x800                                       // 000000004158: BEC300FF 00000800
	v_cndmask_b32_e32 v17, v32, v34, vcc                       // 000000004160: 00224520
	v_mov_b32_e32 v230, 0xff800000                             // 000000004164: 7FCC02FF FF800000
	s_mul_i32 s68, 8, s5                                       // 00000000416C: 92440588
	s_mul_i32 s81, 8, s51                                      // 000000004170: 92513388
	s_mov_b32 s69, 32                                          // 000000004174: BEC500A0
	s_mul_i32 s60, s6, 0xc0                                    // 000000004178: 923CFF06 000000C0
	s_mul_i32 s60, s2, s60                                     // 000000004180: 923C3C02
	s_mul_i32 s61, s45, s76                                    // 000000004184: 923D4C2D
	s_add_u32 s54, s60, s61                                    // 000000004188: 80363D3C
	s_mul_i32 s60, s2, 0xc0                                    // 00000000418C: 923CFF02 000000C0
	s_sub_i32 s60, s85, s60                                    // 000000004194: 81BC3C55
	s_mul_i32 s60, s6, s60                                     // 000000004198: 923C3C06
	s_lshr_b32 s60, s60, 2                                     // 00000000419C: 8F3C823C
	s_mov_b32 s14, s60                                         // 0000000041A0: BE8E003C
	s_add_u32 s12, s54, s90                                    // 0000000041A4: 800C5A36
	s_addc_u32 s13, 0, s91                                     // 0000000041A8: 820D5B80
	s_mul_i32 s60, s84, s6                                     // 0000000041AC: 923C0654
	s_mul_hi_u32 s61, s84, s6                                  // 0000000041B0: 963D0654
	s_and_b32 s61, s61, 0xffff                                 // 0000000041B4: 863DFF3D 0000FFFF
	s_add_u32 s12, s12, s60                                    // 0000000041BC: 800C3C0C
	s_addc_u32 s13, s13, s61                                   // 0000000041C0: 820D3D0D
	s_mul_i32 s60, s7, 0xc0                                    // 0000000041C4: 923CFF07 000000C0
	s_mul_i32 s60, s2, s60                                     // 0000000041CC: 923C3C02
	s_mul_i32 s61, s45, s77                                    // 0000000041D0: 923D4D2D
	s_add_u32 s54, s60, s61                                    // 0000000041D4: 80363D3C
	s_mul_i32 s60, s2, 0xc0                                    // 0000000041D8: 923CFF02 000000C0
	s_sub_i32 s60, s85, s60                                    // 0000000041E0: 81BC3C55
	s_mul_i32 s60, s7, s60                                     // 0000000041E4: 923C3C07
	s_lshr_b32 s60, s60, 2                                     // 0000000041E8: 8F3C823C
	s_mov_b32 s18, s60                                         // 0000000041EC: BE92003C
	s_add_u32 s16, s54, s92                                    // 0000000041F0: 80105C36
	s_addc_u32 s17, 0, s93                                     // 0000000041F4: 82115D80
	s_mul_i32 s60, s84, s7                                     // 0000000041F8: 923C0754
	s_mul_hi_u32 s61, s84, s7                                  // 0000000041FC: 963D0754
	s_and_b32 s61, s61, 0xffff                                 // 000000004200: 863DFF3D 0000FFFF
	s_add_u32 s16, s16, s60                                    // 000000004208: 80103C10
	s_addc_u32 s17, s17, s61                                   // 00000000420C: 82113D11
	s_mul_i32 s61, s3, s75                                     // 000000004210: 923D4B03
	s_mov_b32 s55, s61                                         // 000000004214: BEB7003D
	s_mul_i32 s60, s5, s83                                     // 000000004218: 923C5305
	s_lshr_b32 s60, s60, 2                                     // 00000000421C: 8F3C823C
	s_mov_b32 s10, s60                                         // 000000004220: BE8A003C
	s_add_u32 s8, s55, s88                                     // 000000004224: 80085837
	s_addc_u32 s9, 0, s89                                      // 000000004228: 82095980
	s_mul_i32 s60, s82, s5                                     // 00000000422C: 923C0552
	s_mul_hi_u32 s61, s82, s5                                  // 000000004230: 963D0552
	s_and_b32 s61, s61, 0xffff                                 // 000000004234: 863DFF3D 0000FFFF
	s_add_u32 s8, s8, s60                                      // 00000000423C: 80083C08
	s_addc_u32 s9, s9, s61                                     // 000000004240: 82093D09
	s_mul_i32 s61, s3, s78                                     // 000000004244: 923D4E03
	s_mov_b32 s56, s61                                         // 000000004248: BEB8003D
	s_mul_i32 s60, s51, s83                                    // 00000000424C: 923C5333
	s_lshr_b32 s60, s60, 2                                     // 000000004250: 8F3C823C
	s_mov_b32 s22, s60                                         // 000000004254: BE96003C
	s_add_u32 s20, s56, s94                                    // 000000004258: 80145E38
	s_addc_u32 s21, 0, s95                                     // 00000000425C: 82155F80
	s_mul_i32 s60, s82, s51                                    // 000000004260: 923C3352
	s_mul_hi_u32 s61, s82, s51                                 // 000000004264: 963D3352
	s_and_b32 s61, s61, 0xffff                                 // 000000004268: 863DFF3D 0000FFFF
	s_add_u32 s20, s20, s60                                    // 000000004270: 80143C14
	s_addc_u32 s21, s21, s61                                   // 000000004274: 82153D15
	s_mul_i32 s62, 4, s82                                      // 000000004278: 923E5284
	s_mul_i32 s61, s3, s49                                     // 00000000427C: 923D3103
	s_add_u32 s65, s61, s62                                    // 000000004280: 80413E3D
	s_mul_i32 s60, 4, s83                                      // 000000004284: 923C5384
	s_add_u32 s60, s60, s61                                    // 000000004288: 803C3D3C
	s_add_u32 s60, s60, s62                                    // 00000000428C: 803C3E3C
	s_lshr_b32 s60, s60, 2                                     // 000000004290: 8F3C823C
	s_mov_b32 s26, s60                                         // 000000004294: BE9A003C
	s_mov_b32 s30, s60                                         // 000000004298: BE9E003C
	s_cmp_lt_u32 s46, 2                                        // 00000000429C: BF0A822E
	s_cselect_b32 s24, s24, s28                                // 0000000042A0: 85181C18
	s_cselect_b32 s25, s25, s29                                // 0000000042A4: 85191D19
	s_cselect_b32 s26, s26, s30                                // 0000000042A8: 851A1E1A
	s_cselect_b32 s27, s27, s31                                // 0000000042AC: 851B1F1B
	s_mov_b32 s71, s6                                          // 0000000042B0: BEC70006
	v_lshrrev_b32_e32 v32, 4, v0                               // 0000000042B4: 20400084
	v_and_b32_e32 v33, 1, v32                                  // 0000000042B8: 26424081
	v_lshlrev_b32_e32 v33, 1, v33                              // 0000000042BC: 24424281
	v_mul_i32_i24_e32 v33, s71, v33                            // 0000000042C0: 0C424247
	v_and_b32_e32 v34, 2, v32                                  // 0000000042C4: 26444082
	v_lshlrev_b32_e32 v34, 5, v34                              // 0000000042C8: 24444485
	v_add_u32_e32 v33, v34, v33                                // 0000000042CC: 68424322
	v_and_b32_e32 v32, 15, v0                                  // 0000000042D0: 2640008F
	v_lshlrev_b32_e32 v32, 2, v32                              // 0000000042D4: 24404082
	v_add_u32_e32 v1, v32, v33                                 // 0000000042D8: 68024320
	s_mul_i32 s60, s46, s71                                    // 0000000042DC: 923C472E
	s_mul_i32 s60, s60, 4                                      // 0000000042E0: 923C843C
	v_add_u32_e32 v1, s60, v1                                  // 0000000042E4: 6802023C
	v_add_u32_e32 v2, s71, v1                                  // 0000000042E8: 68040247
	s_mul_i32 s60, 16, s71                                     // 0000000042EC: 923C4790
	v_add_u32_e32 v3, s60, v1                                  // 0000000042F0: 6806023C
	v_add_u32_e32 v4, s60, v2                                  // 0000000042F4: 6808043C
	s_mov_b32 s71, s7                                          // 0000000042F8: BEC70007
	v_lshrrev_b32_e32 v32, 4, v0                               // 0000000042FC: 20400084
	v_and_b32_e32 v33, 1, v32                                  // 000000004300: 26424081
	v_lshlrev_b32_e32 v33, 1, v33                              // 000000004304: 24424281
	v_mul_i32_i24_e32 v33, s71, v33                            // 000000004308: 0C424247
	v_and_b32_e32 v34, 2, v32                                  // 00000000430C: 26444082
	v_lshlrev_b32_e32 v34, 5, v34                              // 000000004310: 24444485
	v_add_u32_e32 v33, v34, v33                                // 000000004314: 68424322
	v_and_b32_e32 v32, 15, v0                                  // 000000004318: 2640008F
	v_lshlrev_b32_e32 v32, 2, v32                              // 00000000431C: 24404082
	v_add_u32_e32 v231, v32, v33                               // 000000004320: 69CE4320
	s_mul_i32 s60, s46, s71                                    // 000000004324: 923C472E
	s_mul_i32 s60, s60, 4                                      // 000000004328: 923C843C
	v_add_u32_e32 v231, s60, v231                              // 00000000432C: 69CFCE3C
	v_add_u32_e32 v232, s71, v231                              // 000000004330: 69D1CE47
	s_mul_i32 s60, 16, s71                                     // 000000004334: 923C4790
	v_add_u32_e32 v233, s60, v231                              // 000000004338: 69D3CE3C
	v_add_u32_e32 v234, s60, v232                              // 00000000433C: 69D5D03C
	v_lshrrev_b32_e32 v1, 2, v1                                // 000000004340: 20020282
	v_lshrrev_b32_e32 v2, 2, v2                                // 000000004344: 20040482
	v_lshrrev_b32_e32 v231, 2, v231                            // 000000004348: 21CFCE82
	v_lshrrev_b32_e32 v232, 2, v232                            // 00000000434C: 21D1D082
	v_and_b32_e32 v11, 31, v0                                  // 000000004350: 2616009F
	v_lshlrev_b32_e32 v11, 2, v11                              // 000000004354: 24161682
	v_add_u32_e32 v11, s65, v11                                // 000000004358: 68161641
	v_lshrrev_b32_e32 v11, 2, v11                              // 00000000435C: 20161682
	s_mov_b32 s70, s52                                         // 000000004360: BEC60034
	v_lshrrev_b32_e32 v32, 3, v0                               // 000000004364: 20400083
	v_mul_i32_i24_e32 v5, s70, v32                             // 000000004368: 0C0A4046
	v_lshrrev_b32_e32 v5, 2, v5                                // 00000000436C: 200A0A82
	v_and_b32_e32 v32, 7, v0                                   // 000000004370: 26400087
	v_lshlrev_b32_e32 v33, 2, v32                              // 000000004374: 24424082
	v_add_u32_e32 v5, v33, v5                                  // 000000004378: 680A0B21
	s_mul_i32 s60, 16, s70                                     // 00000000437C: 923C4690
	s_mul_i32 s60, s46, s60                                    // 000000004380: 923C3C2E
	v_lshlrev_b32_e32 v5, 2, v5                                // 000000004384: 240A0A82
	v_add_u32_e32 v5, s60, v5                                  // 000000004388: 680A0A3C
	s_mul_i32 s60, 0xc0, s52                                   // 00000000438C: 923C34FF 000000C0
	s_mul_i32 s60, s2, s60                                     // 000000004394: 923C3C02
	s_mul_i32 s61, s3, s79                                     // 000000004398: 923D4F03
	s_mul_i32 s62, s84, s52                                    // 00000000439C: 923E3454
	s_add_u32 s60, s60, s61                                    // 0000000043A0: 803C3D3C
	v_add_u32_e32 v5, s60, v5                                  // 0000000043A4: 680A0A3C
	v_lshrrev_b32_e32 v5, 2, v5                                // 0000000043A8: 200A0A82
	s_mul_i32 s60, s85, s52                                    // 0000000043AC: 923C3455
	s_add_u32 s60, s60, s61                                    // 0000000043B0: 803C3D3C
	s_lshr_b32 s60, s60, 2                                     // 0000000043B4: 8F3C823C
	s_mov_b32 s38, s60                                         // 0000000043B8: BEA6003C
	s_mul_hi_u32 s60, s84, s52                                 // 0000000043BC: 963C3454
	s_and_b32 s60, s60, 0xffff                                 // 0000000043C0: 863CFF3C 0000FFFF
	s_add_u32 s36, s62, s36                                    // 0000000043C8: 8024243E
	s_addc_u32 s37, s60, s37                                   // 0000000043CC: 8225253C
	s_mov_b32 s70, s53                                         // 0000000043D0: BEC60035
	v_lshrrev_b32_e32 v32, 3, v0                               // 0000000043D4: 20400083
	v_mul_i32_i24_e32 v10, s70, v32                            // 0000000043D8: 0C144046
	v_lshrrev_b32_e32 v10, 2, v10                              // 0000000043DC: 20141482
	v_and_b32_e32 v32, 7, v0                                   // 0000000043E0: 26400087
	v_lshlrev_b32_e32 v33, 2, v32                              // 0000000043E4: 24424082
	v_add_u32_e32 v10, v33, v10                                // 0000000043E8: 68141521
	s_mul_i32 s60, 16, s70                                     // 0000000043EC: 923C4690
	s_mul_i32 s60, s46, s60                                    // 0000000043F0: 923C3C2E
	v_lshlrev_b32_e32 v10, 2, v10                              // 0000000043F4: 24141482
	v_add_u32_e32 v10, s60, v10                                // 0000000043F8: 6814143C
	s_mul_i32 s60, 0xc0, s53                                   // 0000000043FC: 923C35FF 000000C0
	s_mul_i32 s60, s2, s60                                     // 000000004404: 923C3C02
	s_mul_i32 s61, s3, s80                                     // 000000004408: 923D5003
	s_mul_i32 s62, s84, s53                                    // 00000000440C: 923E3554
	s_add_u32 s60, s60, s61                                    // 000000004410: 803C3D3C
	v_add_u32_e32 v10, s60, v10                                // 000000004414: 6814143C
	v_lshrrev_b32_e32 v10, 2, v10                              // 000000004418: 20141482
	s_mul_i32 s60, s85, s53                                    // 00000000441C: 923C3555
	s_add_u32 s60, s60, s61                                    // 000000004420: 803C3D3C
	s_lshr_b32 s60, s60, 2                                     // 000000004424: 8F3C823C
	s_mov_b32 s42, s60                                         // 000000004428: BEAA003C
	s_mul_hi_u32 s60, s84, s53                                 // 00000000442C: 963C3554
	s_and_b32 s60, s60, 0xffff                                 // 000000004430: 863CFF3C 0000FFFF
	s_add_u32 s40, s62, s40                                    // 000000004438: 8028283E
	s_addc_u32 s41, s60, s41                                   // 00000000443C: 8229293C
	v_lshrrev_b32_e32 v32, 5, v0                               // 000000004440: 20400085
	v_mul_i32_i24_e32 v6, 0x80, v32                            // 000000004444: 0C0C40FF 00000080
	v_and_b32_e32 v32, 31, v0                                  // 00000000444C: 2640009F
	v_add_u32_e32 v6, v32, v6                                  // 000000004450: 680C0D20
	s_mul_i32 s60, s46, 0x100                                  // 000000004454: 923CFF2E 00000100
	v_add_u32_e32 v6, s60, v6                                  // 00000000445C: 680C0C3C
	v_lshlrev_b32_e32 v6, 2, v6                                // 000000004460: 240C0C82
	v_add_u32_e32 v7, 0x100, v6                                // 000000004464: 680E0CFF 00000100
	v_add_u32_e32 v8, 0x1000, v6                               // 00000000446C: 68100CFF 00001000
	v_add_u32_e32 v9, 0x1000, v7                               // 000000004474: 68120EFF 00001000
	s_mul_i32 s72, 64, s65                                     // 00000000447C: 924841C0
	s_mul_hi_u32 s62, 64, s65                                  // 000000004480: 963E41C0
	s_and_b32 s62, s62, 0xffff                                 // 000000004484: 863EFF3E 0000FFFF
	s_add_u32 s32, s72, s32                                    // 00000000448C: 80202048
	s_addc_u32 s33, s62, s33                                   // 000000004490: 8221213E
	s_mul_i32 s60, 64, s83                                     // 000000004494: 923C53C0
	s_mov_b32 s34, s60                                         // 000000004498: BEA2003C
	v_lshrrev_b32_e32 v6, 2, v6                                // 00000000449C: 200C0C82
	v_lshrrev_b32_e32 v7, 2, v7                                // 0000000044A0: 200E0E82
	v_lshrrev_b32_e32 v8, 2, v8                                // 0000000044A4: 20101082
	v_lshrrev_b32_e32 v9, 2, v9                                // 0000000044A8: 20121282
	s_mul_i32 s60, 3, s2                                       // 0000000044AC: 923C0283
	s_add_u32 s61, s85, 63                                     // 0000000044B0: 803DBF55
	s_lshr_b32 s61, s61, 6                                     // 0000000044B4: 8F3D863D
	s_sub_i32 s73, s61, s60                                    // 0000000044B8: 81C93C3D
	s_cmp_lt_i32 s73, 3                                        // 0000000044BC: BF048349
	s_cselect_b32 s73, s73, 3                                  // 0000000044C0: 85498349
	v_mov_b32_e32 v227, 0xffff0000                             // 0000000044C4: 7FC602FF FFFF0000
	v_mov_b32_e32 v228, 0x7fff0000                             // 0000000044CC: 7FC802FF 7FFF0000
	v_mov_b32_e32 v229, 0x7fff                                 // 0000000044D4: 7FCA02FF 00007FFF
	s_mul_i32 s60, 0xc0, s2                                    // 0000000044DC: 923C02FF 000000C0
	s_sub_i32 s83, s85, s60                                    // 0000000044E4: 81D33C55
	s_lshr_b32 s60, s46, 1                                     // 0000000044E8: 8F3C812E
	s_lshl_b32 s60, s60, 8                                     // 0000000044EC: 8E3C883C
	s_add_u32 s76, 0x9a00, s60                                 // 0000000044F0: 804C3CFF 00009A00
	s_add_u32 s77, 0x200, s76                                  // 0000000044F8: 804D4CFF 00000200
	s_mov_b32 m0, s76                                          // 000000004500: BEFC004C
	v_and_b32_e32 v32, 31, v0                                  // 000000004504: 2640009F
	v_lshrrev_b32_e32 v32, 1, v32                              // 000000004508: 20404081
	v_and_b32_e32 v33, 1, v32                                  // 00000000450C: 26424081
	v_lshlrev_b32_e32 v33, 4, v33                              // 000000004510: 24424284
	v_and_b32_e32 v34, 2, v32                                  // 000000004514: 26444082
	v_lshlrev_b32_e32 v34, 2, v34                              // 000000004518: 24444482
	v_add_u32_e32 v33, v34, v33                                // 00000000451C: 68424322
	v_and_b32_e32 v34, 12, v32                                 // 000000004520: 2644408C
	v_lshrrev_b32_e32 v34, 1, v34                              // 000000004524: 20444481
	v_add_u32_e32 v33, v34, v33                                // 000000004528: 68424322
	v_lshrrev_b32_e32 v32, 5, v0                               // 00000000452C: 20400085
	v_mul_i32_i24_e32 v34, 0x80, v32                           // 000000004530: 0C4440FF 00000080
	v_add_u32_e32 v33, v34, v33                                // 000000004538: 68424322
	v_and_b32_e32 v34, 1, v0                                   // 00000000453C: 26440081
	v_add_u32_e32 v13, v34, v33                                // 000000004540: 681A4322
	s_mul_i32 s60, s46, 32                                     // 000000004544: 923CA02E
	v_add_u32_e32 v13, s60, v13                                // 000000004548: 681A1A3C
	v_lshlrev_b32_e32 v13, 2, v13                              // 00000000454C: 241A1A82
	v_lshrrev_b32_e32 v32, 4, v0                               // 000000004550: 20400084
	v_and_b32_e32 v33, 1, v32                                  // 000000004554: 26424081
	v_lshlrev_b32_e32 v33, 4, v33                              // 000000004558: 24424284
	v_and_b32_e32 v34, 2, v32                                  // 00000000455C: 26444082
	v_mul_i32_i24_e32 v34, 4, v34                              // 000000004560: 0C444484
	v_add_u32_e32 v33, v34, v33                                // 000000004564: 68424322
	v_and_b32_e32 v32, 15, v0                                  // 000000004568: 2640008F
	v_lshrrev_b32_e32 v34, 2, v32                              // 00000000456C: 20444082
	v_lshlrev_b32_e32 v34, 5, v34                              // 000000004570: 24444485
	v_add_u32_e32 v33, v34, v33                                // 000000004574: 68424322
	v_and_b32_e32 v32, 3, v0                                   // 000000004578: 26400083
	v_and_b32_e32 v34, 1, v32                                  // 00000000457C: 26444081
	v_mul_i32_i24_e32 v34, 0x108, v34                          // 000000004580: 0C4444FF 00000108
	v_add_u32_e32 v33, v34, v33                                // 000000004588: 68424322
	v_and_b32_e32 v34, 2, v32                                  // 00000000458C: 26444082
	v_lshlrev_b32_e32 v34, 1, v34                              // 000000004590: 24444481
	v_add_u32_e32 v12, v34, v33                                // 000000004594: 68184322
	v_lshlrev_b32_e32 v12, 2, v12                              // 000000004598: 24181882
	s_mul_i32 s60, s46, 0x880                                  // 00000000459C: 923CFF2E 00000880
	v_add_u32_e32 v24, s60, v12                                // 0000000045A4: 6830183C
	v_lshrrev_b32_e32 v32, 5, v0                               // 0000000045A8: 20400085
	v_mul_i32_i24_e32 v15, 0x80, v32                           // 0000000045AC: 0C1E40FF 00000080
	v_and_b32_e32 v32, 31, v0                                  // 0000000045B4: 2640009F
	v_and_b32_e32 v33, 7, v32                                  // 0000000045B8: 26424087
	v_and_b32_e32 v34, 1, v33                                  // 0000000045BC: 26444281
	v_lshlrev_b32_e32 v34, 2, v34                              // 0000000045C0: 24444482
	v_add_u32_e32 v15, v34, v15                                // 0000000045C4: 681E1F22
	v_and_b32_e32 v34, 2, v33                                  // 0000000045C8: 26444282
	v_lshlrev_b32_e32 v34, 3, v34                              // 0000000045CC: 24444483
	v_add_u32_e32 v15, v34, v15                                // 0000000045D0: 681E1F22
	v_and_b32_e32 v34, 4, v33                                  // 0000000045D4: 26444284
	v_lshlrev_b32_e32 v34, 1, v34                              // 0000000045D8: 24444481
	v_add_u32_e32 v15, v34, v15                                // 0000000045DC: 681E1F22
	v_lshrrev_b32_e32 v33, 3, v32                              // 0000000045E0: 20424083
	v_and_b32_e32 v34, 1, v33                                  // 0000000045E4: 26444281
	v_lshlrev_b32_e32 v34, 1, v34                              // 0000000045E8: 24444481
	v_add_u32_e32 v15, v34, v15                                // 0000000045EC: 681E1F22
	v_and_b32_e32 v34, 2, v33                                  // 0000000045F0: 26444282
	v_lshrrev_b32_e32 v34, 1, v34                              // 0000000045F4: 20444481
	v_add_u32_e32 v15, v34, v15                                // 0000000045F8: 681E1F22
	s_mul_i32 s60, s46, 32                                     // 0000000045FC: 923CA02E
	v_add_u32_e32 v15, s60, v15                                // 000000004600: 681E1E3C
	v_lshlrev_b32_e32 v15, 2, v15                              // 000000004604: 241E1E82
	v_and_b32_e32 v32, 15, v0                                  // 000000004608: 2640008F
	v_and_b32_e32 v34, 1, v32                                  // 00000000460C: 26444081
	v_mul_i32_i24_e32 v14, 0x108, v34                          // 000000004610: 0C1C44FF 00000108
	v_and_b32_e32 v34, 2, v32                                  // 000000004618: 26444082
	v_lshlrev_b32_e32 v34, 1, v34                              // 00000000461C: 24444481
	v_add_u32_e32 v14, v34, v14                                // 000000004620: 681C1D22
	v_and_b32_e32 v34, 4, v32                                  // 000000004624: 26444084
	v_lshlrev_b32_e32 v34, 2, v34                              // 000000004628: 24444482
	v_add_u32_e32 v14, v34, v14                                // 00000000462C: 681C1D22
	v_and_b32_e32 v34, 8, v32                                  // 000000004630: 26444088
	v_add_u32_e32 v14, v34, v14                                // 000000004634: 681C1D22
	v_lshrrev_b32_e32 v32, 4, v0                               // 000000004638: 20400084
	v_and_b32_e32 v34, 1, v32                                  // 00000000463C: 26444081
	v_lshlrev_b32_e32 v34, 5, v34                              // 000000004640: 24444485
	v_add_u32_e32 v14, v34, v14                                // 000000004644: 681C1D22
	v_and_b32_e32 v33, 2, v32                                  // 000000004648: 26424082
	v_mul_i32_i24_e32 v34, 32, v33                             // 00000000464C: 0C4442A0
	v_mul_i32_i24_e32 v33, 0x110, v33                          // 000000004650: 0C4242FF 00000110
	v_add_u32_e32 v25, v33, v14                                // 000000004658: 68321D21
	v_add_u32_e32 v14, v34, v14                                // 00000000465C: 681C1D22
	v_lshlrev_b32_e32 v14, 2, v14                              // 000000004660: 241C1C82
	v_lshlrev_b32_e32 v25, 2, v25                              // 000000004664: 24323282
	s_and_b32 s60, 1, s46                                      // 000000004668: 863C2E81
	s_mul_i32 s60, s60, 0x200                                  // 00000000466C: 923CFF3C 00000200
	v_add_u32_e32 v25, s60, v25                                // 000000004674: 6832323C
	v_lshrrev_b32_e32 v32, 4, v0                               // 000000004678: 20400084
	v_mul_i32_i24_e32 v23, 4, v32                              // 00000000467C: 0C2E4084
	v_and_b32_e32 v33, 3, v0                                   // 000000004680: 26420083
	v_add_u32_e32 v23, v33, v23                                // 000000004684: 682E2F21
	v_lshlrev_b32_e32 v23, 2, v23                              // 000000004688: 242E2E82
	v_lshrrev_b32_e32 v32, 4, v0                               // 00000000468C: 20400084
	v_and_b32_e32 v33, 1, v32                                  // 000000004690: 26424081
	v_mul_i32_i24_e32 v21, 0x100, v33                          // 000000004694: 0C2A42FF 00000100
	v_and_b32_e32 v33, 2, v32                                  // 00000000469C: 26424082
	v_mul_i32_i24_e32 v33, 64, v33                             // 0000000046A0: 0C4242C0
	v_add_u32_e32 v21, v33, v21                                // 0000000046A4: 682A2B21
	v_and_b32_e32 v32, 15, v0                                  // 0000000046A8: 2640008F
	v_mul_i32_i24_e32 v33, 2, v32                              // 0000000046AC: 0C424082
	v_add_u32_e32 v21, v33, v21                                // 0000000046B0: 682A2B21
	s_mul_i32 s60, s46, 32                                     // 0000000046B4: 923CA02E
	v_add_u32_e32 v21, s60, v21                                // 0000000046B8: 682A2A3C
	v_lshlrev_b32_e32 v21, 2, v21                              // 0000000046BC: 242A2A82
	v_lshlrev_b32_e32 v22, 1, v0                               // 0000000046C0: 242C0081
	s_mul_i32 s60, s46, 0x200                                  // 0000000046C4: 923CFF2E 00000200
	v_add_u32_e32 v22, s60, v22                                // 0000000046CC: 682C2C3C
	v_lshlrev_b32_e32 v22, 2, v22                              // 0000000046D0: 242C2C82
	v_lshrrev_b32_e32 v32, 5, v0                               // 0000000046D4: 20400085
	v_mul_i32_i24_e32 v19, 64, v32                             // 0000000046D8: 0C2640C0
	v_and_b32_e32 v32, 31, v0                                  // 0000000046DC: 2640009F
	v_and_b32_e32 v32, 3, v32                                  // 0000000046E0: 26404083
	v_and_b32_e32 v33, 1, v32                                  // 0000000046E4: 26424081
	v_mul_i32_i24_e32 v33, 4, v33                              // 0000000046E8: 0C424284
	v_add_u32_e32 v19, v33, v19                                // 0000000046EC: 68262721
	v_and_b32_e32 v33, 2, v32                                  // 0000000046F0: 26424082
	v_mul_i32_i24_e32 v33, 0x44, v33                           // 0000000046F4: 0C4242FF 00000044
	v_add_u32_e32 v19, v33, v19                                // 0000000046FC: 68262721
	v_and_b32_e32 v32, 31, v0                                  // 000000004700: 2640009F
	v_lshrrev_b32_e32 v32, 2, v32                              // 000000004704: 20404082
	v_lshrrev_b32_e32 v34, 2, v32                              // 000000004708: 20444082
	v_mul_i32_i24_e32 v33, 16, v34                             // 00000000470C: 0C424490
	v_add_u32_e32 v19, v33, v19                                // 000000004710: 68262721
	v_and_b32_e32 v33, 2, v32                                  // 000000004714: 26424082
	v_lshlrev_b32_e32 v33, 4, v33                              // 000000004718: 24424284
	v_add_u32_e32 v19, v33, v19                                // 00000000471C: 68262721
	v_and_b32_e32 v33, 1, v32                                  // 000000004720: 26424081
	v_xor_b32_e32 v33, v34, v33                                // 000000004724: 2A424322
	v_mul_i32_i24_e32 v33, 8, v33                              // 000000004728: 0C424288
	v_add_u32_e32 v19, v33, v19                                // 00000000472C: 68262721
	s_lshr_b32 s60, s46, 1                                     // 000000004730: 8F3C812E
	s_mul_i32 s60, s60, 0x6c0                                  // 000000004734: 923CFF3C 000006C0
	v_add_u32_e32 v19, s60, v19                                // 00000000473C: 6826263C
	v_lshlrev_b32_e32 v19, 2, v19                              // 000000004740: 24262682
	v_lshrrev_b32_e32 v32, 5, v0                               // 000000004744: 20400085
	v_mul_i32_i24_e32 v20, 32, v32                             // 000000004748: 0C2840A0
	v_and_b32_e32 v32, 31, v0                                  // 00000000474C: 2640009F
	v_and_b32_e32 v32, 3, v32                                  // 000000004750: 26404083
	v_and_b32_e32 v33, 1, v32                                  // 000000004754: 26424081
	v_mul_i32_i24_e32 v33, 4, v33                              // 000000004758: 0C424284
	v_add_u32_e32 v20, v33, v20                                // 00000000475C: 68282921
	v_and_b32_e32 v33, 2, v32                                  // 000000004760: 26424082
	v_lshrrev_b32_e32 v33, 1, v33                              // 000000004764: 20424281
	v_add_u32_e32 v20, v33, v20                                // 000000004768: 68282921
	v_and_b32_e32 v32, 31, v0                                  // 00000000476C: 2640009F
	v_lshrrev_b32_e32 v32, 2, v32                              // 000000004770: 20404082
	v_and_b32_e32 v34, 1, v32                                  // 000000004774: 26444081
	v_mul_i32_i24_e32 v33, 16, v34                             // 000000004778: 0C424490
	v_add_u32_e32 v20, v33, v20                                // 00000000477C: 68282921
	v_and_b32_e32 v33, 2, v32                                  // 000000004780: 26424082
	v_add_u32_e32 v20, v33, v20                                // 000000004784: 68282921
	v_lshrrev_b32_e32 v33, 2, v32                              // 000000004788: 20424082
	v_xor_b32_e32 v33, v34, v33                                // 00000000478C: 2A424322
	v_mul_i32_i24_e32 v33, 8, v33                              // 000000004790: 0C424288
	v_add_u32_e32 v20, v33, v20                                // 000000004794: 68282921
	s_and_b32 s60, 1, s46                                      // 000000004798: 863C2E81
	s_mul_i32 s60, s60, 64                                     // 00000000479C: 923CC03C
	s_lshr_b32 s61, s46, 1                                     // 0000000047A0: 8F3D812E
	s_mul_i32 s61, s61, 0x120                                  // 0000000047A4: 923DFF3D 00000120
	s_add_u32 s60, s60, s61                                    // 0000000047AC: 803C3D3C
	v_add_u32_e32 v20, s60, v20                                // 0000000047B0: 6828283C
	v_lshlrev_b32_e32 v20, 2, v20                              // 0000000047B4: 24282882
	buffer_load_dword v178, v1, s[12:15], 0 idxen              // 0000000047B8: E0502000 8003B201
	buffer_load_dword v179, v2, s[12:15], 0 idxen              // 0000000047C0: E0502000 8003B302
	s_mul_i32 s60, 4, s6                                       // 0000000047C8: 923C0684
	s_cmp_lt_i32 0, s73                                        // 0000000047CC: BF044980
	s_cselect_b32 s60, s60, 0                                  // 0000000047D0: 853C803C
	v_add_u32_e32 v1, s60, v1                                  // 0000000047D4: 6802023C
	v_add_u32_e32 v2, s60, v2                                  // 0000000047D8: 6804043C
	buffer_load_dword v180, v1, s[12:15], 0 idxen              // 0000000047DC: E0502000 8003B401
	buffer_load_dword v181, v2, s[12:15], 0 idxen              // 0000000047E4: E0502000 8003B502
	s_mul_i32 s60, 4, s6                                       // 0000000047EC: 923C0684
	s_cmp_lt_i32 0, s73                                        // 0000000047F0: BF044980
	s_cselect_b32 s60, s60, 0                                  // 0000000047F4: 853C803C
	v_add_u32_e32 v1, s60, v1                                  // 0000000047F8: 6802023C
	v_add_u32_e32 v2, s60, v2                                  // 0000000047FC: 6804043C
	buffer_load_dword v182, v1, s[12:15], 0 idxen              // 000000004800: E0502000 8003B601
	buffer_load_dword v183, v2, s[12:15], 0 idxen              // 000000004808: E0502000 8003B702
	s_mul_i32 s60, 4, s6                                       // 000000004810: 923C0684
	s_cmp_lt_i32 0, s73                                        // 000000004814: BF044980
	s_cselect_b32 s60, s60, 0                                  // 000000004818: 853C803C
	v_add_u32_e32 v1, s60, v1                                  // 00000000481C: 6802023C
	v_add_u32_e32 v2, s60, v2                                  // 000000004820: 6804043C
	buffer_load_dword v184, v1, s[12:15], 0 idxen              // 000000004824: E0502000 8003B801
	buffer_load_dword v185, v2, s[12:15], 0 idxen              // 00000000482C: E0502000 8003B902
	s_mul_i32 s60, 4, s6                                       // 000000004834: 923C0684
	s_cmp_lt_i32 1, s73                                        // 000000004838: BF044981
	s_cselect_b32 s60, s60, 0                                  // 00000000483C: 853C803C
	v_add_u32_e32 v1, s60, v1                                  // 000000004840: 6802023C
	v_add_u32_e32 v2, s60, v2                                  // 000000004844: 6804043C
	buffer_load_dword v186, v1, s[12:15], 0 idxen              // 000000004848: E0502000 8003BA01
	buffer_load_dword v187, v2, s[12:15], 0 idxen              // 000000004850: E0502000 8003BB02
	s_mul_i32 s60, 4, s6                                       // 000000004858: 923C0684
	s_cmp_lt_i32 1, s73                                        // 00000000485C: BF044981
	s_cselect_b32 s60, s60, 0                                  // 000000004860: 853C803C
	v_add_u32_e32 v1, s60, v1                                  // 000000004864: 6802023C
	v_add_u32_e32 v2, s60, v2                                  // 000000004868: 6804043C
	buffer_load_dword v188, v1, s[12:15], 0 idxen              // 00000000486C: E0502000 8003BC01
	buffer_load_dword v189, v2, s[12:15], 0 idxen              // 000000004874: E0502000 8003BD02
	s_mul_i32 s60, 4, s6                                       // 00000000487C: 923C0684
	s_cmp_lt_i32 1, s73                                        // 000000004880: BF044981
	s_cselect_b32 s60, s60, 0                                  // 000000004884: 853C803C
	v_add_u32_e32 v1, s60, v1                                  // 000000004888: 6802023C
	v_add_u32_e32 v2, s60, v2                                  // 00000000488C: 6804043C
	buffer_load_dword v190, v1, s[12:15], 0 idxen              // 000000004890: E0502000 8003BE01
	buffer_load_dword v191, v2, s[12:15], 0 idxen              // 000000004898: E0502000 8003BF02
	s_mul_i32 s60, 4, s6                                       // 0000000048A0: 923C0684
	s_cmp_lt_i32 1, s73                                        // 0000000048A4: BF044981
	s_cselect_b32 s60, s60, 0                                  // 0000000048A8: 853C803C
	v_add_u32_e32 v1, s60, v1                                  // 0000000048AC: 6802023C
	v_add_u32_e32 v2, s60, v2                                  // 0000000048B0: 6804043C
	buffer_load_dword v192, v1, s[12:15], 0 idxen              // 0000000048B4: E0502000 8003C001
	buffer_load_dword v193, v2, s[12:15], 0 idxen              // 0000000048BC: E0502000 8003C102
	s_mul_i32 s60, 4, s6                                       // 0000000048C4: 923C0684
	s_cmp_lt_i32 2, s73                                        // 0000000048C8: BF044982
	s_cselect_b32 s60, s60, 0                                  // 0000000048CC: 853C803C
	v_add_u32_e32 v1, s60, v1                                  // 0000000048D0: 6802023C
	v_add_u32_e32 v2, s60, v2                                  // 0000000048D4: 6804043C
	buffer_load_dword v194, v1, s[12:15], 0 idxen              // 0000000048D8: E0502000 8003C201
	buffer_load_dword v195, v2, s[12:15], 0 idxen              // 0000000048E0: E0502000 8003C302
	s_mul_i32 s60, 4, s6                                       // 0000000048E8: 923C0684
	s_cmp_lt_i32 2, s73                                        // 0000000048EC: BF044982
	s_cselect_b32 s60, s60, 0                                  // 0000000048F0: 853C803C
	v_add_u32_e32 v1, s60, v1                                  // 0000000048F4: 6802023C
	v_add_u32_e32 v2, s60, v2                                  // 0000000048F8: 6804043C
	buffer_load_dword v196, v1, s[12:15], 0 idxen              // 0000000048FC: E0502000 8003C401
	buffer_load_dword v197, v2, s[12:15], 0 idxen              // 000000004904: E0502000 8003C502
	s_mul_i32 s60, 4, s6                                       // 00000000490C: 923C0684
	s_cmp_lt_i32 2, s73                                        // 000000004910: BF044982
	s_cselect_b32 s60, s60, 0                                  // 000000004914: 853C803C
	v_add_u32_e32 v1, s60, v1                                  // 000000004918: 6802023C
	v_add_u32_e32 v2, s60, v2                                  // 00000000491C: 6804043C
	buffer_load_dword v198, v1, s[12:15], 0 idxen              // 000000004920: E0502000 8003C601
	buffer_load_dword v199, v2, s[12:15], 0 idxen              // 000000004928: E0502000 8003C702
	s_mul_i32 s60, 4, s6                                       // 000000004930: 923C0684
	s_cmp_lt_i32 2, s73                                        // 000000004934: BF044982
	s_cselect_b32 s60, s60, 0                                  // 000000004938: 853C803C
	v_add_u32_e32 v1, s60, v1                                  // 00000000493C: 6802023C
	v_add_u32_e32 v2, s60, v2                                  // 000000004940: 6804043C
	buffer_load_dword v200, v1, s[12:15], 0 idxen              // 000000004944: E0502000 8003C801
	buffer_load_dword v201, v2, s[12:15], 0 idxen              // 00000000494C: E0502000 8003C902
	s_mul_i32 s60, 4, s6                                       // 000000004954: 923C0684
	s_cmp_lt_i32 3, s73                                        // 000000004958: BF044983
	s_cselect_b32 s60, s60, 0                                  // 00000000495C: 853C803C
	v_add_u32_e32 v1, s60, v1                                  // 000000004960: 6802023C
	v_add_u32_e32 v2, s60, v2                                  // 000000004964: 6804043C
	s_waitcnt vmcnt(16) lgkmcnt(0)                             // 000000004968: BF8C4070
	s_barrier                                                  // 00000000496C: BF8A0000
	s_cmp_lt_i32 0, s73                                        // 000000004970: BF044980
	s_cbranch_scc1 label_02E6                                  // 000000004974: BF850008
	v_mov_b32_e32 v178, 0                                      // 000000004978: 7F640280
	v_mov_b32_e32 v179, 0                                      // 00000000497C: 7F660280
	v_mov_b32_e32 v180, 0                                      // 000000004980: 7F680280
	v_mov_b32_e32 v181, 0                                      // 000000004984: 7F6A0280
	v_mov_b32_e32 v182, 0                                      // 000000004988: 7F6C0280
	v_mov_b32_e32 v183, 0                                      // 00000000498C: 7F6E0280
	v_mov_b32_e32 v184, 0                                      // 000000004990: 7F700280
	v_mov_b32_e32 v185, 0                                      // 000000004994: 7F720280

0000000000004998 <label_02E6>:
	v_perm_b32 v202, v179, v178, s63                           // 000000004998: D1ED00CA 00FF65B3
	v_perm_b32 v203, v179, v178, s64                           // 0000000049A0: D1ED00CB 010365B3
	v_perm_b32 v204, v181, v180, s63                           // 0000000049A8: D1ED00CC 00FF69B5
	v_perm_b32 v205, v181, v180, s64                           // 0000000049B0: D1ED00CD 010369B5
	v_perm_b32 v206, v183, v182, s63                           // 0000000049B8: D1ED00CE 00FF6DB7
	v_perm_b32 v207, v183, v182, s64                           // 0000000049C0: D1ED00CF 01036DB7
	v_perm_b32 v208, v185, v184, s63                           // 0000000049C8: D1ED00D0 00FF71B9
	v_perm_b32 v209, v185, v184, s64                           // 0000000049D0: D1ED00D1 010371B9
	ds_write_b32 v15, v202 offset:8704                         // 0000000049D8: D81A2200 0000CA0F
	ds_write_b32 v15, v203 offset:9760                         // 0000000049E0: D81A2620 0000CB0F
	ds_write_b32 v15, v204 offset:10880                        // 0000000049E8: D81A2A80 0000CC0F
	ds_write_b32 v15, v205 offset:11936                        // 0000000049F0: D81A2EA0 0000CD0F
	ds_write_b32 v15, v206 offset:13056                        // 0000000049F8: D81A3300 0000CE0F
	ds_write_b32 v15, v207 offset:14112                        // 000000004A00: D81A3720 0000CF0F
	ds_write_b32 v15, v208 offset:15232                        // 000000004A08: D81A3B80 0000D00F
	ds_write_b32 v15, v209 offset:16288                        // 000000004A10: D81A3FA0 0000D10F
	ds_write_b32 v13, v178                                     // 000000004A18: D81A0000 0000B20D
	ds_write_b32 v13, v179 offset:1056                         // 000000004A20: D81A0420 0000B30D
	ds_write_b32 v13, v180 offset:2176                         // 000000004A28: D81A0880 0000B40D
	ds_write_b32 v13, v181 offset:3232                         // 000000004A30: D81A0CA0 0000B50D
	ds_write_b32 v13, v182 offset:4352                         // 000000004A38: D81A1100 0000B60D
	ds_write_b32 v13, v183 offset:5408                         // 000000004A40: D81A1520 0000B70D
	ds_write_b32 v13, v184 offset:6528                         // 000000004A48: D81A1980 0000B80D
	ds_write_b32 v13, v185 offset:7584                         // 000000004A50: D81A1DA0 0000B90D
	buffer_load_dword v178, v231, s[16:19], 0 idxen            // 000000004A58: E0502000 8004B2E7
	buffer_load_dword v179, v232, s[16:19], 0 idxen            // 000000004A60: E0502000 8004B3E8
	s_mul_i32 s60, 4, s7                                       // 000000004A68: 923C0784
	s_cmp_lt_i32 0, s73                                        // 000000004A6C: BF044980
	s_cselect_b32 s60, s60, 0                                  // 000000004A70: 853C803C
	v_add_u32_e32 v231, s60, v231                              // 000000004A74: 69CFCE3C
	v_add_u32_e32 v232, s60, v232                              // 000000004A78: 69D1D03C
	buffer_load_dword v180, v231, s[16:19], 0 idxen            // 000000004A7C: E0502000 8004B4E7
	buffer_load_dword v181, v232, s[16:19], 0 idxen            // 000000004A84: E0502000 8004B5E8
	s_mul_i32 s60, 4, s7                                       // 000000004A8C: 923C0784
	s_cmp_lt_i32 0, s73                                        // 000000004A90: BF044980
	s_cselect_b32 s60, s60, 0                                  // 000000004A94: 853C803C
	v_add_u32_e32 v231, s60, v231                              // 000000004A98: 69CFCE3C
	v_add_u32_e32 v232, s60, v232                              // 000000004A9C: 69D1D03C
	buffer_load_dword v182, v231, s[16:19], 0 idxen            // 000000004AA0: E0502000 8004B6E7
	buffer_load_dword v183, v232, s[16:19], 0 idxen            // 000000004AA8: E0502000 8004B7E8
	s_mul_i32 s60, 4, s7                                       // 000000004AB0: 923C0784
	s_cmp_lt_i32 0, s73                                        // 000000004AB4: BF044980
	s_cselect_b32 s60, s60, 0                                  // 000000004AB8: 853C803C
	v_add_u32_e32 v231, s60, v231                              // 000000004ABC: 69CFCE3C
	v_add_u32_e32 v232, s60, v232                              // 000000004AC0: 69D1D03C
	buffer_load_dword v184, v231, s[16:19], 0 idxen            // 000000004AC4: E0502000 8004B8E7
	buffer_load_dword v185, v232, s[16:19], 0 idxen            // 000000004ACC: E0502000 8004B9E8
	s_mul_i32 s60, 4, s7                                       // 000000004AD4: 923C0784
	s_cmp_lt_i32 1, s73                                        // 000000004AD8: BF044981
	s_cselect_b32 s60, s60, 0                                  // 000000004ADC: 853C803C
	v_add_u32_e32 v231, s60, v231                              // 000000004AE0: 69CFCE3C
	v_add_u32_e32 v232, s60, v232                              // 000000004AE4: 69D1D03C
	s_waitcnt lgkmcnt(0)                                       // 000000004AE8: BF8CC07F
	s_barrier                                                  // 000000004AEC: BF8A0000
	ds_read_b128 a[24:27], v25 offset:8704                     // 000000004AF0: DBFE2200 18000019
	ds_read_b128 a[28:31], v25 offset:8960                     // 000000004AF8: DBFE2300 1C000019
	ds_read_b128 a[32:35], v25 offset:13056                    // 000000004B00: DBFE3300 20000019
	ds_read_b128 a[36:39], v25 offset:13312                    // 000000004B08: DBFE3400 24000019
	ds_read_b128 a[0:3], v24                                   // 000000004B10: DBFE0000 00000018
	ds_read_b128 a[4:7], v24 offset:512                        // 000000004B18: DBFE0200 04000018
	s_waitcnt vmcnt(16) lgkmcnt(0)                             // 000000004B20: BF8C4070
	s_barrier                                                  // 000000004B24: BF8A0000
	s_cmp_lt_i32 1, s73                                        // 000000004B28: BF044981
	s_cbranch_scc1 label_0354                                  // 000000004B2C: BF850008
	v_mov_b32_e32 v186, 0                                      // 000000004B30: 7F740280
	v_mov_b32_e32 v187, 0                                      // 000000004B34: 7F760280
	v_mov_b32_e32 v188, 0                                      // 000000004B38: 7F780280
	v_mov_b32_e32 v189, 0                                      // 000000004B3C: 7F7A0280
	v_mov_b32_e32 v190, 0                                      // 000000004B40: 7F7C0280
	v_mov_b32_e32 v191, 0                                      // 000000004B44: 7F7E0280
	v_mov_b32_e32 v192, 0                                      // 000000004B48: 7F800280
	v_mov_b32_e32 v193, 0                                      // 000000004B4C: 7F820280

0000000000004b50 <label_0354>:
	v_perm_b32 v202, v187, v186, s63                           // 000000004B50: D1ED00CA 00FF75BB
	v_perm_b32 v203, v187, v186, s64                           // 000000004B58: D1ED00CB 010375BB
	v_perm_b32 v204, v189, v188, s63                           // 000000004B60: D1ED00CC 00FF79BD
	v_perm_b32 v205, v189, v188, s64                           // 000000004B68: D1ED00CD 010379BD
	v_perm_b32 v206, v191, v190, s63                           // 000000004B70: D1ED00CE 00FF7DBF
	v_perm_b32 v207, v191, v190, s64                           // 000000004B78: D1ED00CF 01037DBF
	v_perm_b32 v208, v193, v192, s63                           // 000000004B80: D1ED00D0 00FF81C1
	v_perm_b32 v209, v193, v192, s64                           // 000000004B88: D1ED00D1 010381C1
	ds_write_b32 v15, v202 offset:8704                         // 000000004B90: D81A2200 0000CA0F
	ds_write_b32 v15, v203 offset:9760                         // 000000004B98: D81A2620 0000CB0F
	ds_write_b32 v15, v204 offset:10880                        // 000000004BA0: D81A2A80 0000CC0F
	ds_write_b32 v15, v205 offset:11936                        // 000000004BA8: D81A2EA0 0000CD0F
	ds_write_b32 v15, v206 offset:13056                        // 000000004BB0: D81A3300 0000CE0F
	ds_write_b32 v15, v207 offset:14112                        // 000000004BB8: D81A3720 0000CF0F
	ds_write_b32 v15, v208 offset:15232                        // 000000004BC0: D81A3B80 0000D00F
	ds_write_b32 v15, v209 offset:16288                        // 000000004BC8: D81A3FA0 0000D10F
	ds_write_b32 v13, v186                                     // 000000004BD0: D81A0000 0000BA0D
	ds_write_b32 v13, v187 offset:1056                         // 000000004BD8: D81A0420 0000BB0D
	ds_write_b32 v13, v188 offset:2176                         // 000000004BE0: D81A0880 0000BC0D
	ds_write_b32 v13, v189 offset:3232                         // 000000004BE8: D81A0CA0 0000BD0D
	ds_write_b32 v13, v190 offset:4352                         // 000000004BF0: D81A1100 0000BE0D
	ds_write_b32 v13, v191 offset:5408                         // 000000004BF8: D81A1520 0000BF0D
	ds_write_b32 v13, v192 offset:6528                         // 000000004C00: D81A1980 0000C00D
	ds_write_b32 v13, v193 offset:7584                         // 000000004C08: D81A1DA0 0000C10D
	buffer_load_dword v186, v231, s[16:19], 0 idxen            // 000000004C10: E0502000 8004BAE7
	buffer_load_dword v187, v232, s[16:19], 0 idxen            // 000000004C18: E0502000 8004BBE8
	s_mul_i32 s60, 4, s7                                       // 000000004C20: 923C0784
	s_cmp_lt_i32 1, s73                                        // 000000004C24: BF044981
	s_cselect_b32 s60, s60, 0                                  // 000000004C28: 853C803C
	v_add_u32_e32 v231, s60, v231                              // 000000004C2C: 69CFCE3C
	v_add_u32_e32 v232, s60, v232                              // 000000004C30: 69D1D03C
	buffer_load_dword v188, v231, s[16:19], 0 idxen            // 000000004C34: E0502000 8004BCE7
	buffer_load_dword v189, v232, s[16:19], 0 idxen            // 000000004C3C: E0502000 8004BDE8
	s_mul_i32 s60, 4, s7                                       // 000000004C44: 923C0784
	s_cmp_lt_i32 1, s73                                        // 000000004C48: BF044981
	s_cselect_b32 s60, s60, 0                                  // 000000004C4C: 853C803C
	v_add_u32_e32 v231, s60, v231                              // 000000004C50: 69CFCE3C
	v_add_u32_e32 v232, s60, v232                              // 000000004C54: 69D1D03C
	buffer_load_dword v190, v231, s[16:19], 0 idxen            // 000000004C58: E0502000 8004BEE7
	buffer_load_dword v191, v232, s[16:19], 0 idxen            // 000000004C60: E0502000 8004BFE8
	s_mul_i32 s60, 4, s7                                       // 000000004C68: 923C0784
	s_cmp_lt_i32 1, s73                                        // 000000004C6C: BF044981
	s_cselect_b32 s60, s60, 0                                  // 000000004C70: 853C803C
	v_add_u32_e32 v231, s60, v231                              // 000000004C74: 69CFCE3C
	v_add_u32_e32 v232, s60, v232                              // 000000004C78: 69D1D03C
	buffer_load_dword v192, v231, s[16:19], 0 idxen            // 000000004C7C: E0502000 8004C0E7
	buffer_load_dword v193, v232, s[16:19], 0 idxen            // 000000004C84: E0502000 8004C1E8
	s_mul_i32 s60, 4, s7                                       // 000000004C8C: 923C0784
	s_cmp_lt_i32 2, s73                                        // 000000004C90: BF044982
	s_cselect_b32 s60, s60, 0                                  // 000000004C94: 853C803C
	v_add_u32_e32 v231, s60, v231                              // 000000004C98: 69CFCE3C
	v_add_u32_e32 v232, s60, v232                              // 000000004C9C: 69D1D03C
	s_waitcnt lgkmcnt(0)                                       // 000000004CA0: BF8CC07F
	s_barrier                                                  // 000000004CA4: BF8A0000
	ds_read_b128 a[40:43], v25 offset:8704                     // 000000004CA8: DBFE2200 28000019
	ds_read_b128 a[44:47], v25 offset:8960                     // 000000004CB0: DBFE2300 2C000019
	ds_read_b128 a[48:51], v25 offset:13056                    // 000000004CB8: DBFE3300 30000019
	ds_read_b128 a[52:55], v25 offset:13312                    // 000000004CC0: DBFE3400 34000019
	ds_read_b128 a[8:11], v24                                  // 000000004CC8: DBFE0000 08000018
	ds_read_b128 a[12:15], v24 offset:512                      // 000000004CD0: DBFE0200 0C000018
	s_waitcnt vmcnt(16) lgkmcnt(0)                             // 000000004CD8: BF8C4070
	s_barrier                                                  // 000000004CDC: BF8A0000
	s_cmp_lt_i32 2, s73                                        // 000000004CE0: BF044982
	s_cbranch_scc1 label_03C2                                  // 000000004CE4: BF850008
	v_mov_b32_e32 v194, 0                                      // 000000004CE8: 7F840280
	v_mov_b32_e32 v195, 0                                      // 000000004CEC: 7F860280
	v_mov_b32_e32 v196, 0                                      // 000000004CF0: 7F880280
	v_mov_b32_e32 v197, 0                                      // 000000004CF4: 7F8A0280
	v_mov_b32_e32 v198, 0                                      // 000000004CF8: 7F8C0280
	v_mov_b32_e32 v199, 0                                      // 000000004CFC: 7F8E0280
	v_mov_b32_e32 v200, 0                                      // 000000004D00: 7F900280
	v_mov_b32_e32 v201, 0                                      // 000000004D04: 7F920280

0000000000004d08 <label_03C2>:
	v_perm_b32 v202, v195, v194, s63                           // 000000004D08: D1ED00CA 00FF85C3
	v_perm_b32 v203, v195, v194, s64                           // 000000004D10: D1ED00CB 010385C3
	v_perm_b32 v204, v197, v196, s63                           // 000000004D18: D1ED00CC 00FF89C5
	v_perm_b32 v205, v197, v196, s64                           // 000000004D20: D1ED00CD 010389C5
	v_perm_b32 v206, v199, v198, s63                           // 000000004D28: D1ED00CE 00FF8DC7
	v_perm_b32 v207, v199, v198, s64                           // 000000004D30: D1ED00CF 01038DC7
	v_perm_b32 v208, v201, v200, s63                           // 000000004D38: D1ED00D0 00FF91C9
	v_perm_b32 v209, v201, v200, s64                           // 000000004D40: D1ED00D1 010391C9
	ds_write_b32 v15, v202 offset:8704                         // 000000004D48: D81A2200 0000CA0F
	ds_write_b32 v15, v203 offset:9760                         // 000000004D50: D81A2620 0000CB0F
	ds_write_b32 v15, v204 offset:10880                        // 000000004D58: D81A2A80 0000CC0F
	ds_write_b32 v15, v205 offset:11936                        // 000000004D60: D81A2EA0 0000CD0F
	ds_write_b32 v15, v206 offset:13056                        // 000000004D68: D81A3300 0000CE0F
	ds_write_b32 v15, v207 offset:14112                        // 000000004D70: D81A3720 0000CF0F
	ds_write_b32 v15, v208 offset:15232                        // 000000004D78: D81A3B80 0000D00F
	ds_write_b32 v15, v209 offset:16288                        // 000000004D80: D81A3FA0 0000D10F
	ds_write_b32 v13, v194                                     // 000000004D88: D81A0000 0000C20D
	ds_write_b32 v13, v195 offset:1056                         // 000000004D90: D81A0420 0000C30D
	ds_write_b32 v13, v196 offset:2176                         // 000000004D98: D81A0880 0000C40D
	ds_write_b32 v13, v197 offset:3232                         // 000000004DA0: D81A0CA0 0000C50D
	ds_write_b32 v13, v198 offset:4352                         // 000000004DA8: D81A1100 0000C60D
	ds_write_b32 v13, v199 offset:5408                         // 000000004DB0: D81A1520 0000C70D
	ds_write_b32 v13, v200 offset:6528                         // 000000004DB8: D81A1980 0000C80D
	ds_write_b32 v13, v201 offset:7584                         // 000000004DC0: D81A1DA0 0000C90D
	buffer_load_dword v194, v231, s[16:19], 0 idxen            // 000000004DC8: E0502000 8004C2E7
	buffer_load_dword v195, v232, s[16:19], 0 idxen            // 000000004DD0: E0502000 8004C3E8
	s_mul_i32 s60, 4, s7                                       // 000000004DD8: 923C0784
	s_cmp_lt_i32 2, s73                                        // 000000004DDC: BF044982
	s_cselect_b32 s60, s60, 0                                  // 000000004DE0: 853C803C
	v_add_u32_e32 v231, s60, v231                              // 000000004DE4: 69CFCE3C
	v_add_u32_e32 v232, s60, v232                              // 000000004DE8: 69D1D03C
	buffer_load_dword v196, v231, s[16:19], 0 idxen            // 000000004DEC: E0502000 8004C4E7
	buffer_load_dword v197, v232, s[16:19], 0 idxen            // 000000004DF4: E0502000 8004C5E8
	s_mul_i32 s60, 4, s7                                       // 000000004DFC: 923C0784
	s_cmp_lt_i32 2, s73                                        // 000000004E00: BF044982
	s_cselect_b32 s60, s60, 0                                  // 000000004E04: 853C803C
	v_add_u32_e32 v231, s60, v231                              // 000000004E08: 69CFCE3C
	v_add_u32_e32 v232, s60, v232                              // 000000004E0C: 69D1D03C
	buffer_load_dword v198, v231, s[16:19], 0 idxen            // 000000004E10: E0502000 8004C6E7
	buffer_load_dword v199, v232, s[16:19], 0 idxen            // 000000004E18: E0502000 8004C7E8
	s_mul_i32 s60, 4, s7                                       // 000000004E20: 923C0784
	s_cmp_lt_i32 2, s73                                        // 000000004E24: BF044982
	s_cselect_b32 s60, s60, 0                                  // 000000004E28: 853C803C
	v_add_u32_e32 v231, s60, v231                              // 000000004E2C: 69CFCE3C
	v_add_u32_e32 v232, s60, v232                              // 000000004E30: 69D1D03C
	buffer_load_dword v200, v231, s[16:19], 0 idxen            // 000000004E34: E0502000 8004C8E7
	buffer_load_dword v201, v232, s[16:19], 0 idxen            // 000000004E3C: E0502000 8004C9E8
	s_mul_i32 s60, 4, s7                                       // 000000004E44: 923C0784
	s_cmp_lt_i32 3, s73                                        // 000000004E48: BF044983
	s_cselect_b32 s60, s60, 0                                  // 000000004E4C: 853C803C
	v_add_u32_e32 v231, s60, v231                              // 000000004E50: 69CFCE3C
	v_add_u32_e32 v232, s60, v232                              // 000000004E54: 69D1D03C
	s_waitcnt lgkmcnt(0)                                       // 000000004E58: BF8CC07F
	s_barrier                                                  // 000000004E5C: BF8A0000
	ds_read_b128 a[56:59], v25 offset:8704                     // 000000004E60: DBFE2200 38000019
	ds_read_b128 a[60:63], v25 offset:8960                     // 000000004E68: DBFE2300 3C000019
	ds_read_b128 a[64:67], v25 offset:13056                    // 000000004E70: DBFE3300 40000019
	ds_read_b128 a[68:71], v25 offset:13312                    // 000000004E78: DBFE3400 44000019
	ds_read_b128 a[16:19], v24                                 // 000000004E80: DBFE0000 10000018
	ds_read_b128 a[20:23], v24 offset:512                      // 000000004E88: DBFE0200 14000018
	s_waitcnt vmcnt(16) lgkmcnt(0)                             // 000000004E90: BF8C4070
	s_barrier                                                  // 000000004E94: BF8A0000
	s_cmp_lt_i32 0, s73                                        // 000000004E98: BF044980
	s_cbranch_scc1 label_0430                                  // 000000004E9C: BF850008
	v_mov_b32_e32 v178, 0                                      // 000000004EA0: 7F640280
	v_mov_b32_e32 v179, 0                                      // 000000004EA4: 7F660280
	v_mov_b32_e32 v180, 0                                      // 000000004EA8: 7F680280
	v_mov_b32_e32 v181, 0                                      // 000000004EAC: 7F6A0280
	v_mov_b32_e32 v182, 0                                      // 000000004EB0: 7F6C0280
	v_mov_b32_e32 v183, 0                                      // 000000004EB4: 7F6E0280
	v_mov_b32_e32 v184, 0                                      // 000000004EB8: 7F700280
	v_mov_b32_e32 v185, 0                                      // 000000004EBC: 7F720280

0000000000004ec0 <label_0430>:
	ds_write_b32 v13, v178                                     // 000000004EC0: D81A0000 0000B20D
	ds_write_b32 v13, v179 offset:1056                         // 000000004EC8: D81A0420 0000B30D
	ds_write_b32 v13, v180 offset:2176                         // 000000004ED0: D81A0880 0000B40D
	ds_write_b32 v13, v181 offset:3232                         // 000000004ED8: D81A0CA0 0000B50D
	ds_write_b32 v13, v182 offset:4352                         // 000000004EE0: D81A1100 0000B60D
	ds_write_b32 v13, v183 offset:5408                         // 000000004EE8: D81A1520 0000B70D
	ds_write_b32 v13, v184 offset:6528                         // 000000004EF0: D81A1980 0000B80D
	ds_write_b32 v13, v185 offset:7584                         // 000000004EF8: D81A1DA0 0000B90D
	s_mov_b32 s71, s5                                          // 000000004F00: BEC70005
	v_lshrrev_b32_e32 v32, 4, v0                               // 000000004F04: 20400084
	v_and_b32_e32 v33, 1, v32                                  // 000000004F08: 26424081
	v_lshlrev_b32_e32 v33, 1, v33                              // 000000004F0C: 24424281
	v_mul_i32_i24_e32 v33, s71, v33                            // 000000004F10: 0C424247
	v_and_b32_e32 v34, 2, v32                                  // 000000004F14: 26444082
	v_lshlrev_b32_e32 v34, 5, v34                              // 000000004F18: 24444485
	v_add_u32_e32 v33, v34, v33                                // 000000004F1C: 68424322
	v_and_b32_e32 v32, 15, v0                                  // 000000004F20: 2640008F
	v_lshlrev_b32_e32 v32, 2, v32                              // 000000004F24: 24404082
	v_add_u32_e32 v1, v32, v33                                 // 000000004F28: 68024320
	s_mul_i32 s60, s46, s71                                    // 000000004F2C: 923C472E
	s_mul_i32 s60, s60, 4                                      // 000000004F30: 923C843C
	v_add_u32_e32 v1, s60, v1                                  // 000000004F34: 6802023C
	v_add_u32_e32 v2, s71, v1                                  // 000000004F38: 68040247
	s_mul_i32 s60, 16, s71                                     // 000000004F3C: 923C4790
	v_add_u32_e32 v3, s60, v1                                  // 000000004F40: 6806023C
	v_add_u32_e32 v4, s60, v2                                  // 000000004F44: 6808043C
	s_mov_b32 s71, s51                                         // 000000004F48: BEC70033
	v_lshrrev_b32_e32 v32, 4, v0                               // 000000004F4C: 20400084
	v_and_b32_e32 v33, 1, v32                                  // 000000004F50: 26424081
	v_lshlrev_b32_e32 v33, 1, v33                              // 000000004F54: 24424281
	v_mul_i32_i24_e32 v33, s71, v33                            // 000000004F58: 0C424247
	v_and_b32_e32 v34, 2, v32                                  // 000000004F5C: 26444082
	v_lshlrev_b32_e32 v34, 5, v34                              // 000000004F60: 24444485
	v_add_u32_e32 v33, v34, v33                                // 000000004F64: 68424322
	v_and_b32_e32 v32, 15, v0                                  // 000000004F68: 2640008F
	v_lshlrev_b32_e32 v32, 2, v32                              // 000000004F6C: 24404082
	v_add_u32_e32 v231, v32, v33                               // 000000004F70: 69CE4320
	s_mul_i32 s60, s46, s71                                    // 000000004F74: 923C472E
	s_mul_i32 s60, s60, 4                                      // 000000004F78: 923C843C
	v_add_u32_e32 v231, s60, v231                              // 000000004F7C: 69CFCE3C
	v_add_u32_e32 v232, s71, v231                              // 000000004F80: 69D1CE47
	s_mul_i32 s60, 16, s71                                     // 000000004F84: 923C4790
	v_add_u32_e32 v233, s60, v231                              // 000000004F88: 69D3CE3C
	v_add_u32_e32 v234, s60, v232                              // 000000004F8C: 69D5D03C
	v_lshrrev_b32_e32 v1, 2, v1                                // 000000004F90: 20020282
	v_lshrrev_b32_e32 v2, 2, v2                                // 000000004F94: 20040482
	v_lshrrev_b32_e32 v3, 2, v3                                // 000000004F98: 20060682
	v_lshrrev_b32_e32 v4, 2, v4                                // 000000004F9C: 20080882
	v_lshrrev_b32_e32 v231, 2, v231                            // 000000004FA0: 21CFCE82
	v_lshrrev_b32_e32 v232, 2, v232                            // 000000004FA4: 21D1D082
	v_lshrrev_b32_e32 v233, 2, v233                            // 000000004FA8: 21D3D282
	v_lshrrev_b32_e32 v234, 2, v234                            // 000000004FAC: 21D5D482
	buffer_load_dword v36, v1, s[8:11], 0 idxen                // 000000004FB0: E0502000 80022401
	buffer_load_dword v37, v2, s[8:11], 0 idxen                // 000000004FB8: E0502000 80022502
	buffer_load_dword v38, v3, s[8:11], 0 idxen                // 000000004FC0: E0502000 80022603
	buffer_load_dword v39, v4, s[8:11], 0 idxen                // 000000004FC8: E0502000 80022704
	buffer_load_dword v44, v231, s[20:23], 0 idxen             // 000000004FD0: E0502000 80052CE7
	buffer_load_dword v45, v232, s[20:23], 0 idxen             // 000000004FD8: E0502000 80052DE8
	buffer_load_dword v46, v233, s[20:23], 0 idxen             // 000000004FE0: E0502000 80052EE9
	buffer_load_dword v47, v234, s[20:23], 0 idxen             // 000000004FE8: E0502000 80052FEA
	s_waitcnt lgkmcnt(0)                                       // 000000004FF0: BF8CC07F
	s_barrier                                                  // 000000004FF4: BF8A0000
	ds_read_b128 a[72:75], v24                                 // 000000004FF8: DBFE0000 48000018
	ds_read_b128 a[76:79], v24 offset:512                      // 000000005000: DBFE0200 4C000018
	v_add_u32_e32 v1, s68, v1                                  // 000000005008: 68020244
	v_add_u32_e32 v2, s68, v2                                  // 00000000500C: 68040444
	v_add_u32_e32 v3, s68, v3                                  // 000000005010: 68060644
	v_add_u32_e32 v4, s68, v4                                  // 000000005014: 68080844
	v_add_u32_e32 v231, s81, v231                              // 000000005018: 69CFCE51
	v_add_u32_e32 v232, s81, v232                              // 00000000501C: 69D1D051
	v_add_u32_e32 v233, s81, v233                              // 000000005020: 69D3D251
	v_add_u32_e32 v234, s81, v234                              // 000000005024: 69D5D451
	s_waitcnt vmcnt(16) lgkmcnt(0)                             // 000000005028: BF8C4070
	s_barrier                                                  // 00000000502C: BF8A0000
	s_cmp_lt_i32 1, s73                                        // 000000005030: BF044981
	s_cbranch_scc1 label_0496                                  // 000000005034: BF850008
	v_mov_b32_e32 v186, 0                                      // 000000005038: 7F740280
	v_mov_b32_e32 v187, 0                                      // 00000000503C: 7F760280
	v_mov_b32_e32 v188, 0                                      // 000000005040: 7F780280
	v_mov_b32_e32 v189, 0                                      // 000000005044: 7F7A0280
	v_mov_b32_e32 v190, 0                                      // 000000005048: 7F7C0280
	v_mov_b32_e32 v191, 0                                      // 00000000504C: 7F7E0280
	v_mov_b32_e32 v192, 0                                      // 000000005050: 7F800280
	v_mov_b32_e32 v193, 0                                      // 000000005054: 7F820280

0000000000005058 <label_0496>:
	ds_write_b32 v13, v186                                     // 000000005058: D81A0000 0000BA0D
	ds_write_b32 v13, v187 offset:1056                         // 000000005060: D81A0420 0000BB0D
	ds_write_b32 v13, v188 offset:2176                         // 000000005068: D81A0880 0000BC0D
	ds_write_b32 v13, v189 offset:3232                         // 000000005070: D81A0CA0 0000BD0D
	ds_write_b32 v13, v190 offset:4352                         // 000000005078: D81A1100 0000BE0D
	ds_write_b32 v13, v191 offset:5408                         // 000000005080: D81A1520 0000BF0D
	ds_write_b32 v13, v192 offset:6528                         // 000000005088: D81A1980 0000C00D
	ds_write_b32 v13, v193 offset:7584                         // 000000005090: D81A1DA0 0000C10D
	buffer_load_dword v40, v1, s[8:11], 0 idxen                // 000000005098: E0502000 80022801
	buffer_load_dword v41, v2, s[8:11], 0 idxen                // 0000000050A0: E0502000 80022902
	buffer_load_dword v42, v3, s[8:11], 0 idxen                // 0000000050A8: E0502000 80022A03
	buffer_load_dword v43, v4, s[8:11], 0 idxen                // 0000000050B0: E0502000 80022B04
	buffer_load_dword v48, v231, s[20:23], 0 idxen             // 0000000050B8: E0502000 800530E7
	buffer_load_dword v49, v232, s[20:23], 0 idxen             // 0000000050C0: E0502000 800531E8
	buffer_load_dword v50, v233, s[20:23], 0 idxen             // 0000000050C8: E0502000 800532E9
	buffer_load_dword v51, v234, s[20:23], 0 idxen             // 0000000050D0: E0502000 800533EA
	s_waitcnt lgkmcnt(0)                                       // 0000000050D8: BF8CC07F
	s_barrier                                                  // 0000000050DC: BF8A0000
	ds_read_b128 a[80:83], v24                                 // 0000000050E0: DBFE0000 50000018
	ds_read_b128 a[84:87], v24 offset:512                      // 0000000050E8: DBFE0200 54000018
	s_add_u32 s60, 64, s59                                     // 0000000050F0: 803C3BC0
	s_cmp_lt_u32 s60, s58                                      // 0000000050F4: BF0A3A3C
	s_cselect_b32 s68, s68, 0                                  // 0000000050F8: 85448044
	s_cselect_b32 s81, s81, 0                                  // 0000000050FC: 85518051
	v_add_u32_e32 v1, s68, v1                                  // 000000005100: 68020244
	v_add_u32_e32 v2, s68, v2                                  // 000000005104: 68040444
	;; [unrolled: 1-line block ×3, first 2 shown]
	v_add_u32_e32 v4, s68, v4                                  // 00000000510C: 68080844
	v_add_u32_e32 v231, s81, v231                              // 000000005110: 69CFCE51
	v_add_u32_e32 v232, s81, v232                              // 000000005114: 69D1D051
	v_add_u32_e32 v233, s81, v233                              // 000000005118: 69D3D251
	v_add_u32_e32 v234, s81, v234                              // 00000000511C: 69D5D451
	s_waitcnt vmcnt(16) lgkmcnt(0)                             // 000000005120: BF8C4070
	s_barrier                                                  // 000000005124: BF8A0000
	s_cmp_lt_i32 2, s73                                        // 000000005128: BF044982
	s_cbranch_scc1 label_04D4                                  // 00000000512C: BF850008
	v_mov_b32_e32 v194, 0                                      // 000000005130: 7F840280
	v_mov_b32_e32 v195, 0                                      // 000000005134: 7F860280
	v_mov_b32_e32 v196, 0                                      // 000000005138: 7F880280
	v_mov_b32_e32 v197, 0                                      // 00000000513C: 7F8A0280
	v_mov_b32_e32 v198, 0                                      // 000000005140: 7F8C0280
	v_mov_b32_e32 v199, 0                                      // 000000005144: 7F8E0280
	v_mov_b32_e32 v200, 0                                      // 000000005148: 7F900280
	v_mov_b32_e32 v201, 0                                      // 00000000514C: 7F920280

0000000000005150 <label_04D4>:
	ds_write_b32 v13, v194                                     // 000000005150: D81A0000 0000C20D
	ds_write_b32 v13, v195 offset:1056                         // 000000005158: D81A0420 0000C30D
	ds_write_b32 v13, v196 offset:2176                         // 000000005160: D81A0880 0000C40D
	ds_write_b32 v13, v197 offset:3232                         // 000000005168: D81A0CA0 0000C50D
	ds_write_b32 v13, v198 offset:4352                         // 000000005170: D81A1100 0000C60D
	ds_write_b32 v13, v199 offset:5408                         // 000000005178: D81A1520 0000C70D
	ds_write_b32 v13, v200 offset:6528                         // 000000005180: D81A1980 0000C80D
	ds_write_b32 v13, v201 offset:7584                         // 000000005188: D81A1DA0 0000C90D
	s_waitcnt lgkmcnt(0)                                       // 000000005190: BF8CC07F
	s_barrier                                                  // 000000005194: BF8A0000
	ds_read_b128 a[88:91], v24                                 // 000000005198: DBFE0000 58000018
	ds_read_b128 a[92:95], v24 offset:512                      // 0000000051A0: DBFE0200 5C000018
	s_waitcnt vmcnt(8) lgkmcnt(0)                              // 0000000051A8: BF8C0078
	s_barrier                                                  // 0000000051AC: BF8A0000
	buffer_load_dword v11, s[24:27], 0 idxen lds               // 0000000051B0: E0512000 8006000B
	s_mov_b32 m0, s77                                          // 0000000051B8: BEFC004D
	v_add_u32_e32 v11, s69, v11                                // 0000000051BC: 68161645
	v_perm_b32 v100, v37, v36, s63                             // 0000000051C0: D1ED0064 00FE4925
	v_perm_b32 v101, v37, v36, s64                             // 0000000051C8: D1ED0065 01024925
	v_perm_b32 v102, v39, v38, s63                             // 0000000051D0: D1ED0066 00FE4D27
	v_perm_b32 v103, v39, v38, s64                             // 0000000051D8: D1ED0067 01024D27
	ds_write_b32 v15, v100 offset:4352                         // 0000000051E0: D81A1100 0000640F
	ds_write_b32 v15, v101 offset:5408                         // 0000000051E8: D81A1520 0000650F
	ds_write_b32 v15, v102 offset:6528                         // 0000000051F0: D81A1980 0000660F
	ds_write_b32 v15, v103 offset:7584                         // 0000000051F8: D81A1DA0 0000670F
	ds_write_b32 v13, v36                                      // 000000005200: D81A0000 0000240D
	ds_write_b32 v13, v37 offset:1056                          // 000000005208: D81A0420 0000250D
	ds_write_b32 v13, v38 offset:2176                          // 000000005210: D81A0880 0000260D
	ds_write_b32 v13, v39 offset:3232                          // 000000005218: D81A0CA0 0000270D
	buffer_load_dword v11, s[24:27], 0 idxen lds               // 000000005220: E0512000 8006000B
	s_add_u32 s60, 64, s59                                     // 000000005228: 803C3BC0
	s_cmp_lt_u32 s60, s58                                      // 00000000522C: BF0A3A3C
	s_cselect_b32 s69, s69, 0                                  // 000000005230: 85458045
	s_mov_b32 m0, s76                                          // 000000005234: BEFC004C
	v_add_u32_e32 v11, s69, v11                                // 000000005238: 68161645
	v_perm_b32 v104, v45, v44, s63                             // 00000000523C: D1ED0068 00FE592D
	v_perm_b32 v105, v45, v44, s64                             // 000000005244: D1ED0069 0102592D
	v_perm_b32 v106, v47, v46, s63                             // 00000000524C: D1ED006A 00FE5D2F
	v_perm_b32 v107, v47, v46, s64                             // 000000005254: D1ED006B 01025D2F
	ds_write_b32 v15, v104 offset:13056                        // 00000000525C: D81A3300 0000680F
	ds_write_b32 v15, v105 offset:14112                        // 000000005264: D81A3720 0000690F
	ds_write_b32 v15, v106 offset:15232                        // 00000000526C: D81A3B80 00006A0F
	ds_write_b32 v15, v107 offset:16288                        // 000000005274: D81A3FA0 00006B0F
	ds_write_b32 v13, v44 offset:8704                          // 00000000527C: D81A2200 00002C0D
	ds_write_b32 v13, v45 offset:9760                          // 000000005284: D81A2620 00002D0D
	ds_write_b32 v13, v46 offset:10880                         // 00000000528C: D81A2A80 00002E0D
	ds_write_b32 v13, v47 offset:11936                         // 000000005294: D81A2EA0 00002F0D
	s_waitcnt vmcnt(1) lgkmcnt(0)                              // 00000000529C: BF8C0071
	s_barrier                                                  // 0000000052A0: BF8A0000
	ds_read_b128 a[96:99], v12                                 // 0000000052A4: DBFE0000 6000000C
	ds_read_b128 a[100:103], v12 offset:512                    // 0000000052AC: DBFE0200 6400000C
	ds_read_b128 a[104:107], v12 offset:2176                   // 0000000052B4: DBFE0880 6800000C
	ds_read_b128 a[108:111], v12 offset:2688                   // 0000000052BC: DBFE0A80 6C00000C
	ds_read_b128 v[108:111], v12 offset:8704                   // 0000000052C4: D9FE2200 6C00000C
	ds_read_b128 v[112:115], v12 offset:9216                   // 0000000052CC: D9FE2400 7000000C
	ds_read_b128 v[116:119], v12 offset:10880                  // 0000000052D4: D9FE2A80 7400000C
	ds_read_b128 v[120:123], v12 offset:11392                  // 0000000052DC: D9FE2C80 7800000C
	ds_read_b32 v140, v23 offset:39424                         // 0000000052E4: D86C9A00 8C000017
	ds_read_b32 v144, v23 offset:39488                         // 0000000052EC: D86C9A40 90000017
	ds_read_b32 v176, v23 offset:39680                         // 0000000052F4: D86C9B00 B0000017
	ds_read_b32 v177, v23 offset:39744                         // 0000000052FC: D86C9B40 B1000017
	v_accvgpr_write_b32 a112, 0                                // 000000005304: D3D94070 18000080
	v_mov_b32_e32 v178, 0                                      // 00000000530C: 7F640280
	v_accvgpr_write_b32 a113, 0                                // 000000005310: D3D94071 18000080
	v_mov_b32_e32 v179, 0                                      // 000000005318: 7F660280
	v_accvgpr_write_b32 a114, 0                                // 00000000531C: D3D94072 18000080
	v_mov_b32_e32 v180, 0                                      // 000000005324: 7F680280
	v_accvgpr_write_b32 a115, 0                                // 000000005328: D3D94073 18000080
	v_mov_b32_e32 v181, 0                                      // 000000005330: 7F6A0280
	v_accvgpr_write_b32 a116, 0                                // 000000005334: D3D94074 18000080
	v_mov_b32_e32 v182, 0                                      // 00000000533C: 7F6C0280
	v_accvgpr_write_b32 a117, 0                                // 000000005340: D3D94075 18000080
	v_mov_b32_e32 v183, 0                                      // 000000005348: 7F6E0280
	v_accvgpr_write_b32 a118, 0                                // 00000000534C: D3D94076 18000080
	v_mov_b32_e32 v184, 0                                      // 000000005354: 7F700280
	v_accvgpr_write_b32 a119, 0                                // 000000005358: D3D94077 18000080
	v_mov_b32_e32 v185, 0                                      // 000000005360: 7F720280
	v_accvgpr_write_b32 a120, 0                                // 000000005364: D3D94078 18000080
	v_mov_b32_e32 v186, 0                                      // 00000000536C: 7F740280
	v_accvgpr_write_b32 a121, 0                                // 000000005370: D3D94079 18000080
	v_mov_b32_e32 v187, 0                                      // 000000005378: 7F760280
	v_accvgpr_write_b32 a122, 0                                // 00000000537C: D3D9407A 18000080
	v_mov_b32_e32 v188, 0                                      // 000000005384: 7F780280
	v_accvgpr_write_b32 a123, 0                                // 000000005388: D3D9407B 18000080
	v_mov_b32_e32 v189, 0                                      // 000000005390: 7F7A0280
	v_accvgpr_write_b32 a124, 0                                // 000000005394: D3D9407C 18000080
	v_mov_b32_e32 v190, 0                                      // 00000000539C: 7F7C0280
	v_accvgpr_write_b32 a125, 0                                // 0000000053A0: D3D9407D 18000080
	v_mov_b32_e32 v191, 0                                      // 0000000053A8: 7F7E0280
	v_accvgpr_write_b32 a126, 0                                // 0000000053AC: D3D9407E 18000080
	v_mov_b32_e32 v192, 0                                      // 0000000053B4: 7F800280
	v_accvgpr_write_b32 a127, 0                                // 0000000053B8: D3D9407F 18000080
	v_mov_b32_e32 v193, 0                                      // 0000000053C0: 7F820280
	v_accvgpr_write_b32 a128, 0                                // 0000000053C4: D3D94080 18000080
	v_mov_b32_e32 v194, 0                                      // 0000000053CC: 7F840280
	v_accvgpr_write_b32 a129, 0                                // 0000000053D0: D3D94081 18000080
	v_mov_b32_e32 v195, 0                                      // 0000000053D8: 7F860280
	v_accvgpr_write_b32 a130, 0                                // 0000000053DC: D3D94082 18000080
	v_mov_b32_e32 v196, 0                                      // 0000000053E4: 7F880280
	v_accvgpr_write_b32 a131, 0                                // 0000000053E8: D3D94083 18000080
	v_mov_b32_e32 v197, 0                                      // 0000000053F0: 7F8A0280
	v_accvgpr_write_b32 a132, 0                                // 0000000053F4: D3D94084 18000080
	v_mov_b32_e32 v198, 0                                      // 0000000053FC: 7F8C0280
	v_accvgpr_write_b32 a133, 0                                // 000000005400: D3D94085 18000080
	v_mov_b32_e32 v199, 0                                      // 000000005408: 7F8E0280
	v_accvgpr_write_b32 a134, 0                                // 00000000540C: D3D94086 18000080
	v_mov_b32_e32 v200, 0                                      // 000000005414: 7F900280
	v_accvgpr_write_b32 a135, 0                                // 000000005418: D3D94087 18000080
	v_mov_b32_e32 v201, 0                                      // 000000005420: 7F920280
	v_accvgpr_write_b32 a136, 0                                // 000000005424: D3D94088 18000080
	v_mov_b32_e32 v202, 0                                      // 00000000542C: 7F940280
	v_accvgpr_write_b32 a137, 0                                // 000000005430: D3D94089 18000080
	v_mov_b32_e32 v203, 0                                      // 000000005438: 7F960280
	v_accvgpr_write_b32 a138, 0                                // 00000000543C: D3D9408A 18000080
	v_mov_b32_e32 v204, 0                                      // 000000005444: 7F980280
	v_accvgpr_write_b32 a139, 0                                // 000000005448: D3D9408B 18000080
	v_mov_b32_e32 v205, 0                                      // 000000005450: 7F9A0280
	v_accvgpr_write_b32 a140, 0                                // 000000005454: D3D9408C 18000080
	v_mov_b32_e32 v206, 0                                      // 00000000545C: 7F9C0280
	v_accvgpr_write_b32 a141, 0                                // 000000005460: D3D9408D 18000080
	v_mov_b32_e32 v207, 0                                      // 000000005468: 7F9E0280
	v_accvgpr_write_b32 a142, 0                                // 00000000546C: D3D9408E 18000080
	v_mov_b32_e32 v208, 0                                      // 000000005474: 7FA00280
	v_accvgpr_write_b32 a143, 0                                // 000000005478: D3D9408F 18000080
	v_mov_b32_e32 v209, 0                                      // 000000005480: 7FA20280
	v_accvgpr_write_b32 a144, 0                                // 000000005484: D3D94090 18000080
	v_mov_b32_e32 v210, 0                                      // 00000000548C: 7FA40280
	v_accvgpr_write_b32 a145, 0                                // 000000005490: D3D94091 18000080
	v_mov_b32_e32 v211, 0                                      // 000000005498: 7FA60280
	v_accvgpr_write_b32 a146, 0                                // 00000000549C: D3D94092 18000080
	v_mov_b32_e32 v212, 0                                      // 0000000054A4: 7FA80280
	v_accvgpr_write_b32 a147, 0                                // 0000000054A8: D3D94093 18000080
	v_mov_b32_e32 v213, 0                                      // 0000000054B0: 7FAA0280
	v_accvgpr_write_b32 a148, 0                                // 0000000054B4: D3D94094 18000080
	v_mov_b32_e32 v214, 0                                      // 0000000054BC: 7FAC0280
	v_accvgpr_write_b32 a149, 0                                // 0000000054C0: D3D94095 18000080
	v_mov_b32_e32 v215, 0                                      // 0000000054C8: 7FAE0280
	v_accvgpr_write_b32 a150, 0                                // 0000000054CC: D3D94096 18000080
	v_mov_b32_e32 v216, 0                                      // 0000000054D4: 7FB00280
	v_accvgpr_write_b32 a151, 0                                // 0000000054D8: D3D94097 18000080
	v_mov_b32_e32 v217, 0                                      // 0000000054E0: 7FB20280
	v_accvgpr_write_b32 a152, 0                                // 0000000054E4: D3D94098 18000080
	v_mov_b32_e32 v218, 0                                      // 0000000054EC: 7FB40280
	v_accvgpr_write_b32 a153, 0                                // 0000000054F0: D3D94099 18000080
	v_mov_b32_e32 v219, 0                                      // 0000000054F8: 7FB60280
	v_accvgpr_write_b32 a154, 0                                // 0000000054FC: D3D9409A 18000080
	v_mov_b32_e32 v220, 0                                      // 000000005504: 7FB80280
	v_accvgpr_write_b32 a155, 0                                // 000000005508: D3D9409B 18000080
	v_mov_b32_e32 v221, 0                                      // 000000005510: 7FBA0280
	v_accvgpr_write_b32 a156, 0                                // 000000005514: D3D9409C 18000080
	v_mov_b32_e32 v222, 0                                      // 00000000551C: 7FBC0280
	v_accvgpr_write_b32 a157, 0                                // 000000005520: D3D9409D 18000080
	v_mov_b32_e32 v223, 0                                      // 000000005528: 7FBE0280
	v_accvgpr_write_b32 a158, 0                                // 00000000552C: D3D9409E 18000080
	v_mov_b32_e32 v224, 0                                      // 000000005534: 7FC00280
	v_accvgpr_write_b32 a159, 0                                // 000000005538: D3D9409F 18000080
	v_mov_b32_e32 v225, 0                                      // 000000005540: 7FC20280
	v_mov_b32_e32 v156, 0                                      // 000000005544: 7F380280
	v_mov_b32_e32 v157, 0                                      // 000000005548: 7F3A0280
	v_mov_b32_e32 v158, 0                                      // 00000000554C: 7F3C0280
	v_mov_b32_e32 v159, 0                                      // 000000005550: 7F3E0280
	v_mov_b32_e32 v160, 0                                      // 000000005554: 7F400280
	v_mov_b32_e32 v161, 0                                      // 000000005558: 7F420280
	v_mov_b32_e32 v162, 0                                      // 00000000555C: 7F440280
	v_mov_b32_e32 v163, 0                                      // 000000005560: 7F460280
	v_mov_b32_e32 v148, 0                                      // 000000005564: 7F280280
	v_mov_b32_e32 v149, 0                                      // 000000005568: 7F2A0280
	v_mov_b32_e32 v150, 0                                      // 00000000556C: 7F2C0280
	v_mov_b32_e32 v151, 0                                      // 000000005570: 7F2E0280
	v_mov_b32_e32 v152, 0                                      // 000000005574: 7F300280
	v_mov_b32_e32 v153, 0                                      // 000000005578: 7F320280
	v_mov_b32_e32 v154, 0                                      // 00000000557C: 7F340280
	v_mov_b32_e32 v155, 0                                      // 000000005580: 7F360280
	s_waitcnt lgkmcnt(0)                                       // 000000005584: BF8CC07F
	s_barrier                                                  // 000000005588: BF8A0000
	buffer_load_dword v36, v1, s[8:11], 0 idxen                // 00000000558C: E0502000 80022401
	buffer_load_dword v37, v2, s[8:11], 0 idxen                // 000000005594: E0502000 80022502
	buffer_load_dword v38, v3, s[8:11], 0 idxen                // 00000000559C: E0502000 80022603
	buffer_load_dword v39, v4, s[8:11], 0 idxen                // 0000000055A4: E0502000 80022704
	buffer_load_dword v44, v231, s[20:23], 0 idxen             // 0000000055AC: E0502000 80052CE7
	buffer_load_dword v45, v232, s[20:23], 0 idxen             // 0000000055B4: E0502000 80052DE8
	buffer_load_dword v46, v233, s[20:23], 0 idxen             // 0000000055BC: E0502000 80052EE9
	buffer_load_dword v47, v234, s[20:23], 0 idxen             // 0000000055C4: E0502000 80052FEA
	buffer_load_dword v11, s[24:27], 0 idxen lds               // 0000000055CC: E0512000 8006000B
	s_add_u32 s60, 0x60, s59                                   // 0000000055D4: 803C3BFF 00000060
	s_cmp_lt_u32 s60, s58                                      // 0000000055DC: BF0A3A3C
	s_cselect_b32 s68, s68, 0                                  // 0000000055E0: 85448044
	s_cselect_b32 s81, s81, 0                                  // 0000000055E4: 85518051
	s_cselect_b32 s69, s69, 0                                  // 0000000055E8: 85458045
	s_mov_b32 m0, s77                                          // 0000000055EC: BEFC004D
	v_add_u32_e32 v11, s69, v11                                // 0000000055F0: 68161645
	v_add_u32_e32 v1, s68, v1                                  // 0000000055F4: 68020244
	v_add_u32_e32 v2, s68, v2                                  // 0000000055F8: 68040444
	v_add_u32_e32 v3, s68, v3                                  // 0000000055FC: 68060644
	v_add_u32_e32 v4, s68, v4                                  // 000000005600: 68080844
	v_add_u32_e32 v231, s81, v231                              // 000000005604: 69CFCE51
	v_add_u32_e32 v232, s81, v232                              // 000000005608: 69D1D051
	v_add_u32_e32 v233, s81, v233                              // 00000000560C: 69D3D251
	v_add_u32_e32 v234, s81, v234                              // 000000005610: 69D5D451
	v_mul_f32_e32 v140, s48, v140                              // 000000005614: 0B191830
	v_mul_f32_e32 v144, s48, v144                              // 000000005618: 0B212030
	v_perm_b32 v100, v41, v40, s63                             // 00000000561C: D1ED0064 00FE5129
	v_perm_b32 v101, v41, v40, s64                             // 000000005624: D1ED0065 01025129
	v_perm_b32 v102, v43, v42, s63                             // 00000000562C: D1ED0066 00FE552B
	v_perm_b32 v103, v43, v42, s64                             // 000000005634: D1ED0067 0102552B
	v_perm_b32 v104, v49, v48, s63                             // 00000000563C: D1ED0068 00FE6131
	v_perm_b32 v105, v49, v48, s64                             // 000000005644: D1ED0069 01026131
	v_perm_b32 v106, v51, v50, s63                             // 00000000564C: D1ED006A 00FE6533
	v_perm_b32 v107, v51, v50, s64                             // 000000005654: D1ED006B 01026533
	v_mov_b32_dpp v143, v140 quad_perm:[3,3,3,3] row_mask:0xf bank_mask:0xf// 00000000565C: 7F1E02FA FF00FF8C
	v_mov_b32_dpp v142, v140 quad_perm:[2,2,2,2] row_mask:0xf bank_mask:0xf// 000000005664: 7F1C02FA FF00AA8C
	v_mov_b32_dpp v141, v140 quad_perm:[1,1,1,1] row_mask:0xf bank_mask:0xf// 00000000566C: 7F1A02FA FF00558C
	v_mov_b32_dpp v140, v140 quad_perm:[0,0,0,0] row_mask:0xf bank_mask:0xf// 000000005674: 7F1802FA FF00008C
	v_mov_b32_dpp v147, v144 quad_perm:[3,3,3,3] row_mask:0xf bank_mask:0xf// 00000000567C: 7F2602FA FF00FF90
	v_mov_b32_dpp v146, v144 quad_perm:[2,2,2,2] row_mask:0xf bank_mask:0xf// 000000005684: 7F2402FA FF00AA90
	v_mov_b32_dpp v145, v144 quad_perm:[1,1,1,1] row_mask:0xf bank_mask:0xf// 00000000568C: 7F2202FA FF005590
	v_mov_b32_dpp v144, v144 quad_perm:[0,0,0,0] row_mask:0xf bank_mask:0xf// 000000005694: 7F2002FA FF000090
	s_waitcnt vmcnt(9)                                         // 00000000569C: BF8C0F79
	s_barrier                                                  // 0000000056A0: BF8A0000
	s_cmp_lt_i32 s46, 2                                        // 0000000056A4: BF04822E
	s_cbranch_scc0 label_0CC5                                  // 0000000056A8: BF840688
	s_nop 0                                                    // 0000000056AC: BF800000
	s_nop 0                                                    // 0000000056B0: BF800000

00000000000056b4 <label_062D>:
	s_waitcnt lgkmcnt(4)                                       // 0000000056B4: BF8CC47F
	s_barrier                                                  // 0000000056B8: BF8A0000
	v_mfma_f32_16x16x16_bf16 v[52:55], a[96:97], a[0:1], 0     // 0000000056BC: D3E10034 1A020160
	ds_write_b32 v13, v48 offset:8704                          // 0000000056C4: D81A2200 0000300D
	ds_write_b32 v13, v49 offset:9760                          // 0000000056CC: D81A2620 0000310D
	v_mfma_f32_16x16x16_bf16 v[52:55], a[98:99], a[2:3], v[52:55]// 0000000056D4: D3E10034 1CD20562
	v_mul_f32_e32 v148, s47, v148                              // 0000000056DC: 0B29282F
	v_mul_f32_e32 v149, s47, v149                              // 0000000056E0: 0B2B2A2F
	v_mfma_f32_16x16x16_bf16 v[52:55], a[100:101], a[4:5], v[52:55]// 0000000056E4: D3E10034 1CD20964
	ds_write_b32 v13, v50 offset:10880                         // 0000000056EC: D81A2A80 0000320D
	ds_write_b32 v13, v51 offset:11936                         // 0000000056F4: D81A2EA0 0000330D
	v_mfma_f32_16x16x16_bf16 v[52:55], a[102:103], a[6:7], v[52:55]// 0000000056FC: D3E10034 1CD20D66
	v_mul_f32_e32 v150, s47, v150                              // 000000005704: 0B2D2C2F
	v_mul_f32_e32 v151, s47, v151                              // 000000005708: 0B2F2E2F
	v_mfma_f32_16x16x16_bf16 v[56:59], a[96:97], a[8:9], 0     // 00000000570C: D3E10038 1A021160
	ds_write_b64 v22, v[148:149] offset:31232                  // 000000005714: D89A7A00 00009416
	v_mfma_f32_16x16x16_bf16 v[56:59], a[98:99], a[10:11], v[56:59]// 00000000571C: D3E10038 1CE21562
	v_mul_f32_e32 v152, s47, v152                              // 000000005724: 0B31302F
	v_mul_f32_e32 v153, s47, v153                              // 000000005728: 0B33322F
	v_mfma_f32_16x16x16_bf16 v[56:59], a[100:101], a[12:13], v[56:59]// 00000000572C: D3E10038 1CE21964
	ds_write_b64 v22, v[150:151] offset:31744                  // 000000005734: D89A7C00 00009616
	v_mfma_f32_16x16x16_bf16 v[56:59], a[102:103], a[14:15], v[56:59]// 00000000573C: D3E10038 1CE21D66
	v_mul_f32_e32 v154, s47, v154                              // 000000005744: 0B35342F
	v_mul_f32_e32 v155, s47, v155                              // 000000005748: 0B37362F
	v_mfma_f32_16x16x16_bf16 v[60:63], a[96:97], a[16:17], 0   // 00000000574C: D3E1003C 1A022160
	ds_write_b64 v22, v[152:153] offset:32256                  // 000000005754: D89A7E00 00009816
	v_mfma_f32_16x16x16_bf16 v[60:63], a[98:99], a[18:19], v[60:63]// 00000000575C: D3E1003C 1CF22562
	buffer_atomic_add_f32 v160, v8, s[32:35], 0 idxen          // 000000005764: E1342000 8008A008
	v_mfma_f32_16x16x16_bf16 v[60:63], a[100:101], a[20:21], v[60:63]// 00000000576C: D3E1003C 1CF22964
	ds_write_b64 v22, v[154:155] offset:32768                  // 000000005774: D89A8000 00009A16
	v_mfma_f32_16x16x16_bf16 v[60:63], a[102:103], a[22:23], v[60:63]// 00000000577C: D3E1003C 1CF22D66
	v_mfma_f32_16x16x16_bf16 v[64:67], a[104:105], a[0:1], 0   // 000000005784: D3E10040 1A020168
	ds_read_b128 v[124:127], v14 offset:13056                  // 00000000578C: D9FE3300 7C00000E
	ds_write_b32 v13, v40                                      // 000000005794: D81A0000 0000280D
	v_mfma_f32_16x16x16_bf16 v[64:67], a[106:107], a[2:3], v[64:67]// 00000000579C: D3E10040 1D02056A
	buffer_atomic_add_f32 v161, v9, s[32:35], 0 idxen          // 0000000057A4: E1342000 8008A109
	v_mfma_f32_16x16x16_bf16 v[64:67], a[108:109], a[4:5], v[64:67]// 0000000057AC: D3E10040 1D02096C
	v_mfma_f32_16x16x16_bf16 v[64:67], a[110:111], a[6:7], v[64:67]// 0000000057B4: D3E10040 1D020D6E
	ds_read_b128 v[128:131], v14 offset:13568                  // 0000000057BC: D9FE3500 8000000E
	ds_write_b32 v13, v41 offset:1056                          // 0000000057C4: D81A0420 0000290D
	v_mfma_f32_16x16x16_bf16 v[68:71], a[104:105], a[8:9], 0   // 0000000057CC: D3E10044 1A021168
	buffer_atomic_add_f32 v162, v8, s[32:35], 0 idxen offset:128// 0000000057D4: E1342080 8008A208
	v_mfma_f32_16x16x16_bf16 v[68:71], a[106:107], a[10:11], v[68:71]// 0000000057DC: D3E10044 1D12156A
	v_mfma_f32_16x16x16_bf16 v[68:71], a[108:109], a[12:13], v[68:71]// 0000000057E4: D3E10044 1D12196C
	ds_read_b128 v[132:135], v14 offset:15232                  // 0000000057EC: D9FE3B80 8400000E
	ds_write_b32 v13, v42 offset:2176                          // 0000000057F4: D81A0880 00002A0D
	v_mfma_f32_16x16x16_bf16 v[68:71], a[110:111], a[14:15], v[68:71]// 0000000057FC: D3E10044 1D121D6E
	v_mfma_f32_16x16x16_bf16 v[72:75], a[104:105], a[16:17], 0 // 000000005804: D3E10048 1A022168
	buffer_atomic_add_f32 v163, v9, s[32:35], 0 idxen offset:128// 00000000580C: E1342080 8008A309
	v_mfma_f32_16x16x16_bf16 v[72:75], a[106:107], a[18:19], v[72:75]// 000000005814: D3E10048 1D22256A
	ds_read_b128 v[136:139], v14 offset:15744                  // 00000000581C: D9FE3D80 8800000E
	ds_write_b32 v13, v43 offset:3232                          // 000000005824: D81A0CA0 00002B0D
	v_mfma_f32_16x16x16_bf16 v[72:75], a[108:109], a[20:21], v[72:75]// 00000000582C: D3E10048 1D22296C
	v_mfma_f32_16x16x16_bf16 v[72:75], a[110:111], a[22:23], v[72:75]// 000000005834: D3E10048 1D222D6E
	s_cmp_lt_i32 s83, 0xc0                                     // 00000000583C: BF04FF53 000000C0
	s_cbranch_scc0 label_0708                                  // 000000005844: BF84006D
	s_cmp_le_i32 s83, 64                                       // 000000005848: BF05C053
	s_cbranch_scc1 label_069B                                  // 00000000584C: BF850007
	s_cmp_le_i32 s83, 0x80                                     // 000000005850: BF05FF53 00000080
	s_cbranch_scc1 label_06BF                                  // 000000005858: BF85001F
	s_cmp_lt_i32 s83, 0xc0                                     // 00000000585C: BF04FF53 000000C0
	s_cbranch_scc1 label_06E3                                  // 000000005864: BF850040
	s_branch label_0708                                        // 000000005868: BF820064

000000000000586c <label_069B>:
	s_mov_b32 s60, 0                                           // 00000000586C: BEBC0080
	v_and_b32_e32 v32, 15, v0                                  // 000000005870: 2640008F
	v_add_u32_e64 v32, v32, s60                                // 000000005874: D1340020 00007920
	v_mul_i32_i24_e64 v33, s46, 16                             // 00000000587C: D1060021 0001202E
	v_add_u32_e32 v32, v32, v33                                // 000000005884: 68404320
	v_cmp_lt_u32_e64 s[60:61], v32, s83                        // 000000005888: D0C9003C 0000A720
	s_nop 1                                                    // 000000005890: BF800001
	v_cndmask_b32_e64 v52, v230, v52, s[60:61]                 // 000000005894: D1000034 00F269E6
	v_cndmask_b32_e64 v64, v230, v64, s[60:61]                 // 00000000589C: D1000040 00F281E6
	v_cndmask_b32_e64 v53, v230, v53, s[60:61]                 // 0000000058A4: D1000035 00F26BE6
	v_cndmask_b32_e64 v65, v230, v65, s[60:61]                 // 0000000058AC: D1000041 00F283E6
	v_cndmask_b32_e64 v54, v230, v54, s[60:61]                 // 0000000058B4: D1000036 00F26DE6
	v_cndmask_b32_e64 v66, v230, v66, s[60:61]                 // 0000000058BC: D1000042 00F285E6
	v_cndmask_b32_e64 v55, v230, v55, s[60:61]                 // 0000000058C4: D1000037 00F26FE6
	v_cndmask_b32_e64 v67, v230, v67, s[60:61]                 // 0000000058CC: D1000043 00F287E6
	s_branch label_06DA                                        // 0000000058D4: BF82001B

00000000000058d8 <label_06BF>:
	s_mov_b32 s60, 64                                          // 0000000058D8: BEBC00C0
	v_and_b32_e32 v32, 15, v0                                  // 0000000058DC: 2640008F
	v_add_u32_e64 v32, v32, s60                                // 0000000058E0: D1340020 00007920
	v_mul_i32_i24_e64 v33, s46, 16                             // 0000000058E8: D1060021 0001202E
	v_add_u32_e32 v32, v32, v33                                // 0000000058F0: 68404320
	v_cmp_lt_u32_e64 s[60:61], v32, s83                        // 0000000058F4: D0C9003C 0000A720
	s_nop 1                                                    // 0000000058FC: BF800001
	v_cndmask_b32_e64 v56, v230, v56, s[60:61]                 // 000000005900: D1000038 00F271E6
	v_cndmask_b32_e64 v68, v230, v68, s[60:61]                 // 000000005908: D1000044 00F289E6
	v_cndmask_b32_e64 v57, v230, v57, s[60:61]                 // 000000005910: D1000039 00F273E6
	v_cndmask_b32_e64 v69, v230, v69, s[60:61]                 // 000000005918: D1000045 00F28BE6
	v_cndmask_b32_e64 v58, v230, v58, s[60:61]                 // 000000005920: D100003A 00F275E6
	v_cndmask_b32_e64 v70, v230, v70, s[60:61]                 // 000000005928: D1000046 00F28DE6
	v_cndmask_b32_e64 v59, v230, v59, s[60:61]                 // 000000005930: D100003B 00F277E6
	v_cndmask_b32_e64 v71, v230, v71, s[60:61]                 // 000000005938: D1000047 00F28FE6
	s_branch label_06FF                                        // 000000005940: BF820025

0000000000005944 <label_06DA>:
	v_mov_b32_e32 v56, v230                                    // 000000005944: 7E7003E6
	v_mov_b32_e32 v68, v230                                    // 000000005948: 7E8803E6
	v_mov_b32_e32 v57, v230                                    // 00000000594C: 7E7203E6
	v_mov_b32_e32 v69, v230                                    // 000000005950: 7E8A03E6
	v_mov_b32_e32 v58, v230                                    // 000000005954: 7E7403E6
	v_mov_b32_e32 v70, v230                                    // 000000005958: 7E8C03E6
	v_mov_b32_e32 v59, v230                                    // 00000000595C: 7E7603E6
	v_mov_b32_e32 v71, v230                                    // 000000005960: 7E8E03E6
	s_branch label_06FF                                        // 000000005964: BF82001C

0000000000005968 <label_06E3>:
	s_mov_b32 s60, 0x80                                        // 000000005968: BEBC00FF 00000080
	v_and_b32_e32 v32, 15, v0                                  // 000000005970: 2640008F
	v_add_u32_e64 v32, v32, s60                                // 000000005974: D1340020 00007920
	v_mul_i32_i24_e64 v33, s46, 16                             // 00000000597C: D1060021 0001202E
	v_add_u32_e32 v32, v32, v33                                // 000000005984: 68404320
	v_cmp_lt_u32_e64 s[60:61], v32, s83                        // 000000005988: D0C9003C 0000A720
	s_nop 1                                                    // 000000005990: BF800001
	v_cndmask_b32_e64 v60, v230, v60, s[60:61]                 // 000000005994: D100003C 00F279E6
	v_cndmask_b32_e64 v72, v230, v72, s[60:61]                 // 00000000599C: D1000048 00F291E6
	v_cndmask_b32_e64 v61, v230, v61, s[60:61]                 // 0000000059A4: D100003D 00F27BE6
	v_cndmask_b32_e64 v73, v230, v73, s[60:61]                 // 0000000059AC: D1000049 00F293E6
	v_cndmask_b32_e64 v62, v230, v62, s[60:61]                 // 0000000059B4: D100003E 00F27DE6
	v_cndmask_b32_e64 v74, v230, v74, s[60:61]                 // 0000000059BC: D100004A 00F295E6
	v_cndmask_b32_e64 v63, v230, v63, s[60:61]                 // 0000000059C4: D100003F 00F27FE6
	v_cndmask_b32_e64 v75, v230, v75, s[60:61]                 // 0000000059CC: D100004B 00F297E6
	s_branch label_0708                                        // 0000000059D4: BF820009

00000000000059d8 <label_06FF>:
	v_mov_b32_e32 v60, v230                                    // 0000000059D8: 7E7803E6
	v_mov_b32_e32 v72, v230                                    // 0000000059DC: 7E9003E6
	v_mov_b32_e32 v61, v230                                    // 0000000059E0: 7E7A03E6
	v_mov_b32_e32 v73, v230                                    // 0000000059E4: 7E9203E6
	v_mov_b32_e32 v62, v230                                    // 0000000059E8: 7E7C03E6
	v_mov_b32_e32 v74, v230                                    // 0000000059EC: 7E9403E6
	v_mov_b32_e32 v63, v230                                    // 0000000059F0: 7E7E03E6
	v_mov_b32_e32 v75, v230                                    // 0000000059F4: 7E9603E6
	s_branch label_0708                                        // 0000000059F8: BF820000

00000000000059fc <label_0708>:
	s_waitcnt lgkmcnt(8)                                       // 0000000059FC: BF8CC87F
	s_barrier                                                  // 000000005A00: BF8A0000
	v_mfma_f32_16x16x16_bf16 v[76:79], v[108:109], a[72:73], 0 // 000000005A04: D3E1004C 1202916C
	ds_read_b128 a[96:99], v14 offset:4352                     // 000000005A0C: DBFE1100 6000000E
	ds_read_b128 a[100:103], v14 offset:4864                   // 000000005A14: DBFE1300 6400000E
	v_mfma_f32_16x16x16_bf16 v[76:79], v[110:111], a[74:75], v[76:79]// 000000005A1C: D3E1004C 1532956E
	v_fma_f32 v52, v52, s57, -v140                             // 000000005A24: D1CB0034 86307334
	v_fma_f32 v53, v53, s57, -v141                             // 000000005A2C: D1CB0035 86347335
	v_fma_f32 v54, v54, s57, -v142                             // 000000005A34: D1CB0036 86387336
	v_fma_f32 v55, v55, s57, -v143                             // 000000005A3C: D1CB0037 863C7337
	v_fma_f32 v56, v56, s57, -v140                             // 000000005A44: D1CB0038 86307338
	v_fma_f32 v57, v57, s57, -v141                             // 000000005A4C: D1CB0039 86347339
	v_mfma_f32_16x16x16_bf16 v[76:79], v[112:113], a[76:77], v[76:79]// 000000005A54: D3E1004C 15329970
	v_fma_f32 v58, v58, s57, -v142                             // 000000005A5C: D1CB003A 8638733A
	v_fma_f32 v59, v59, s57, -v143                             // 000000005A64: D1CB003B 863C733B
	v_fma_f32 v60, v60, s57, -v140                             // 000000005A6C: D1CB003C 8630733C
	v_fma_f32 v61, v61, s57, -v141                             // 000000005A74: D1CB003D 8634733D
	v_fma_f32 v62, v62, s57, -v142                             // 000000005A7C: D1CB003E 8638733E
	v_fma_f32 v63, v63, s57, -v143                             // 000000005A84: D1CB003F 863C733F
	v_mfma_f32_16x16x16_bf16 v[76:79], v[114:115], a[78:79], v[76:79]// 000000005A8C: D3E1004C 15329D72
	v_fma_f32 v64, v64, s57, -v144                             // 000000005A94: D1CB0040 86407340
	v_fma_f32 v65, v65, s57, -v145                             // 000000005A9C: D1CB0041 86447341
	v_fma_f32 v66, v66, s57, -v146                             // 000000005AA4: D1CB0042 86487342
	v_fma_f32 v67, v67, s57, -v147                             // 000000005AAC: D1CB0043 864C7343
	v_fma_f32 v68, v68, s57, -v144                             // 000000005AB4: D1CB0044 86407344
	v_fma_f32 v69, v69, s57, -v145                             // 000000005ABC: D1CB0045 86447345
	v_mfma_f32_16x16x16_bf16 v[80:83], v[108:109], a[80:81], 0 // 000000005AC4: D3E10050 1202A16C
	ds_read_b128 a[104:107], v14 offset:6528                   // 000000005ACC: DBFE1980 6800000E
	ds_read_b128 a[108:111], v14 offset:7040                   // 000000005AD4: DBFE1B80 6C00000E
	v_mfma_f32_16x16x16_bf16 v[80:83], v[110:111], a[82:83], v[80:83]// 000000005ADC: D3E10050 1542A56E
	v_fma_f32 v70, v70, s57, -v146                             // 000000005AE4: D1CB0046 86487346
	v_fma_f32 v71, v71, s57, -v147                             // 000000005AEC: D1CB0047 864C7347
	v_fma_f32 v72, v72, s57, -v144                             // 000000005AF4: D1CB0048 86407348
	v_fma_f32 v73, v73, s57, -v145                             // 000000005AFC: D1CB0049 86447349
	v_fma_f32 v74, v74, s57, -v146                             // 000000005B04: D1CB004A 8648734A
	v_fma_f32 v75, v75, s57, -v147                             // 000000005B0C: D1CB004B 864C734B
	v_mfma_f32_16x16x16_bf16 v[80:83], v[112:113], a[84:85], v[80:83]// 000000005B14: D3E10050 1542A970
	v_exp_f32_e32 v52, v52                                     // 000000005B1C: 7E684134
	v_exp_f32_e32 v53, v53                                     // 000000005B20: 7E6A4135
	v_mfma_f32_16x16x16_bf16 v[80:83], v[114:115], a[86:87], v[80:83]// 000000005B24: D3E10050 1542AD72
	v_exp_f32_e32 v54, v54                                     // 000000005B2C: 7E6C4136
	v_exp_f32_e32 v55, v55                                     // 000000005B30: 7E6E4137
	v_mfma_f32_16x16x16_bf16 v[84:87], v[108:109], a[88:89], 0 // 000000005B34: D3E10054 1202B16C
	ds_read_b64 v[156:157], v21 offset:31232                   // 000000005B3C: D8EC7A00 9C000015
	ds_read_b64 v[158:159], v21 offset:33280                   // 000000005B44: D8EC8200 9E000015
	v_mfma_f32_16x16x16_bf16 v[84:87], v[110:111], a[90:91], v[84:87]// 000000005B4C: D3E10054 1552B56E
	v_exp_f32_e32 v56, v56                                     // 000000005B54: 7E704138
	v_exp_f32_e32 v57, v57                                     // 000000005B58: 7E724139
	v_mfma_f32_16x16x16_bf16 v[84:87], v[112:113], a[92:93], v[84:87]// 000000005B5C: D3E10054 1552B970
	ds_read_b64 v[160:161], v21 offset:35328                   // 000000005B64: D8EC8A00 A0000015
	ds_read_b64 v[162:163], v21 offset:37376                   // 000000005B6C: D8EC9200 A2000015
	v_mfma_f32_16x16x16_bf16 v[84:87], v[114:115], a[94:95], v[84:87]// 000000005B74: D3E10054 1552BD72
	v_exp_f32_e32 v58, v58                                     // 000000005B7C: 7E74413A
	v_exp_f32_e32 v59, v59                                     // 000000005B80: 7E76413B
	v_mfma_f32_16x16x16_bf16 v[88:91], v[116:117], a[72:73], 0 // 000000005B84: D3E10058 12029174
	v_exp_f32_e32 v60, v60                                     // 000000005B8C: 7E78413C
	v_exp_f32_e32 v61, v61                                     // 000000005B90: 7E7A413D
	v_mfma_f32_16x16x16_bf16 v[88:91], v[118:119], a[74:75], v[88:91]// 000000005B94: D3E10058 15629576
	v_exp_f32_e32 v62, v62                                     // 000000005B9C: 7E7C413E
	v_exp_f32_e32 v63, v63                                     // 000000005BA0: 7E7E413F
	v_mfma_f32_16x16x16_bf16 v[88:91], v[120:121], a[76:77], v[88:91]// 000000005BA4: D3E10058 15629978
	v_exp_f32_e32 v64, v64                                     // 000000005BAC: 7E804140
	v_exp_f32_e32 v65, v65                                     // 000000005BB0: 7E824141
	v_mfma_f32_16x16x16_bf16 v[88:91], v[122:123], a[78:79], v[88:91]// 000000005BB4: D3E10058 15629D7A
	v_exp_f32_e32 v66, v66                                     // 000000005BBC: 7E844142
	v_exp_f32_e32 v67, v67                                     // 000000005BC0: 7E864143
	v_mfma_f32_16x16x16_bf16 v[92:95], v[116:117], a[80:81], 0 // 000000005BC4: D3E1005C 1202A174
	v_exp_f32_e32 v68, v68                                     // 000000005BCC: 7E884144
	v_exp_f32_e32 v69, v69                                     // 000000005BD0: 7E8A4145
	v_mfma_f32_16x16x16_bf16 v[92:95], v[118:119], a[82:83], v[92:95]// 000000005BD4: D3E1005C 1572A576
	v_exp_f32_e32 v70, v70                                     // 000000005BDC: 7E8C4146
	v_exp_f32_e32 v71, v71                                     // 000000005BE0: 7E8E4147
	v_mfma_f32_16x16x16_bf16 v[92:95], v[120:121], a[84:85], v[92:95]// 000000005BE4: D3E1005C 1572A978
	v_exp_f32_e32 v72, v72                                     // 000000005BEC: 7E904148
	v_exp_f32_e32 v73, v73                                     // 000000005BF0: 7E924149
	v_mfma_f32_16x16x16_bf16 v[92:95], v[122:123], a[86:87], v[92:95]// 000000005BF4: D3E1005C 1572AD7A
	v_exp_f32_e32 v74, v74                                     // 000000005BFC: 7E94414A
	v_exp_f32_e32 v75, v75                                     // 000000005C00: 7E96414B
	v_mfma_f32_16x16x16_bf16 v[96:99], v[116:117], a[88:89], 0 // 000000005C04: D3E10060 1202B174
	v_perm_b32 v164, v53, v52, s64                             // 000000005C0C: D1ED00A4 01026935
	v_perm_b32 v165, v55, v54, s64                             // 000000005C14: D1ED00A5 01026D37
	v_perm_b32 v166, v57, v56, s64                             // 000000005C1C: D1ED00A6 01027139
	v_perm_b32 v167, v59, v58, s64                             // 000000005C24: D1ED00A7 0102753B
	v_perm_b32 v168, v61, v60, s64                             // 000000005C2C: D1ED00A8 0102793D
	v_perm_b32 v169, v63, v62, s64                             // 000000005C34: D1ED00A9 01027D3F
	v_mfma_f32_16x16x16_bf16 v[96:99], v[118:119], a[90:91], v[96:99]// 000000005C3C: D3E10060 1582B576
	v_perm_b32 v170, v65, v64, s64                             // 000000005C44: D1ED00AA 01028141
	v_perm_b32 v171, v67, v66, s64                             // 000000005C4C: D1ED00AB 01028543
	v_perm_b32 v172, v69, v68, s64                             // 000000005C54: D1ED00AC 01028945
	v_perm_b32 v173, v71, v70, s64                             // 000000005C5C: D1ED00AD 01028D47
	v_perm_b32 v174, v73, v72, s64                             // 000000005C64: D1ED00AE 01029149
	v_perm_b32 v175, v75, v74, s64                             // 000000005C6C: D1ED00AF 0102954B
	v_mfma_f32_16x16x16_bf16 v[96:99], v[120:121], a[92:93], v[96:99]// 000000005C74: D3E10060 1582B978
	v_add_u32_e32 v6, s66, v6                                  // 000000005C7C: 680C0C42
	v_add_u32_e32 v7, s66, v7                                  // 000000005C80: 680E0E42
	v_add_u32_e32 v8, s66, v8                                  // 000000005C84: 68101042
	v_add_u32_e32 v9, s66, v9                                  // 000000005C88: 68121242
	v_mfma_f32_16x16x16_bf16 v[96:99], v[122:123], a[94:95], v[96:99]// 000000005C8C: D3E10060 1582BD7A
	s_waitcnt lgkmcnt(0)                                       // 000000005C94: BF8CC07F
	s_barrier                                                  // 000000005C98: BF8A0000
	v_mfma_f32_16x16x16_bf16 v[178:181], v[124:125], v[164:165], v[178:181]// 000000005C9C: D3E100B2 06CB497C
	v_subrev_f32_dpp v76, v176, v76 quad_perm:[0,0,0,0] row_mask:0xf bank_mask:0xf// 000000005CA4: 069898FA FF0000B0
	v_subrev_f32_dpp v77, v176, v77 quad_perm:[1,1,1,1] row_mask:0xf bank_mask:0xf// 000000005CAC: 069A9AFA FF0055B0
	v_subrev_f32_dpp v78, v176, v78 quad_perm:[2,2,2,2] row_mask:0xf bank_mask:0xf// 000000005CB4: 069C9CFA FF00AAB0
	v_subrev_f32_dpp v79, v176, v79 quad_perm:[3,3,3,3] row_mask:0xf bank_mask:0xf// 000000005CBC: 069E9EFA FF00FFB0
	v_subrev_f32_dpp v80, v176, v80 quad_perm:[0,0,0,0] row_mask:0xf bank_mask:0xf// 000000005CC4: 06A0A0FA FF0000B0
	v_subrev_f32_dpp v81, v176, v81 quad_perm:[1,1,1,1] row_mask:0xf bank_mask:0xf// 000000005CCC: 06A2A2FA FF0055B0
	v_mfma_f32_16x16x16_bf16 v[182:185], v[126:127], v[164:165], v[182:185]// 000000005CD4: D3E100B6 06DB497E
	v_subrev_f32_dpp v82, v176, v82 quad_perm:[2,2,2,2] row_mask:0xf bank_mask:0xf// 000000005CDC: 06A4A4FA FF00AAB0
	v_subrev_f32_dpp v83, v176, v83 quad_perm:[3,3,3,3] row_mask:0xf bank_mask:0xf// 000000005CE4: 06A6A6FA FF00FFB0
	v_subrev_f32_dpp v84, v176, v84 quad_perm:[0,0,0,0] row_mask:0xf bank_mask:0xf// 000000005CEC: 06A8A8FA FF0000B0
	v_subrev_f32_dpp v85, v176, v85 quad_perm:[1,1,1,1] row_mask:0xf bank_mask:0xf// 000000005CF4: 06AAAAFA FF0055B0
	v_subrev_f32_dpp v86, v176, v86 quad_perm:[2,2,2,2] row_mask:0xf bank_mask:0xf// 000000005CFC: 06ACACFA FF00AAB0
	v_subrev_f32_dpp v87, v176, v87 quad_perm:[3,3,3,3] row_mask:0xf bank_mask:0xf// 000000005D04: 06AEAEFA FF00FFB0
	v_mfma_f32_16x16x16_bf16 v[186:189], v[128:129], v[164:165], v[186:189]// 000000005D0C: D3E100BA 06EB4980
	v_mul_f32_e32 v76, v52, v76                                // 000000005D14: 0A989934
	v_mul_f32_e32 v77, v53, v77                                // 000000005D18: 0A9A9B35
	v_mul_f32_e32 v78, v54, v78                                // 000000005D1C: 0A9C9D36
	v_mul_f32_e32 v79, v55, v79                                // 000000005D20: 0A9E9F37
	v_mul_f32_e32 v80, v56, v80                                // 000000005D24: 0AA0A138
	v_mul_f32_e32 v81, v57, v81                                // 000000005D28: 0AA2A339
	v_mfma_f32_16x16x16_bf16 v[190:193], v[130:131], v[164:165], v[190:193]// 000000005D2C: D3E100BE 06FB4982
	v_mul_f32_e32 v82, v58, v82                                // 000000005D34: 0AA4A53A
	v_mul_f32_e32 v83, v59, v83                                // 000000005D38: 0AA6A73B
	v_mul_f32_e32 v84, v60, v84                                // 000000005D3C: 0AA8A93C
	v_mul_f32_e32 v85, v61, v85                                // 000000005D40: 0AAAAB3D
	v_mul_f32_e32 v86, v62, v86                                // 000000005D44: 0AACAD3E
	v_mul_f32_e32 v87, v63, v87                                // 000000005D48: 0AAEAF3F
	v_mfma_f32_16x16x16_bf16 v[194:197], v[124:125], v[166:167], v[194:197]// 000000005D4C: D3E100C2 070B4D7C
	v_perm_b32 v76, v77, v76, s64                              // 000000005D54: D1ED004C 0102994D
	v_perm_b32 v77, v79, v78, s64                              // 000000005D5C: D1ED004D 01029D4F
	v_perm_b32 v78, v81, v80, s64                              // 000000005D64: D1ED004E 0102A151
	v_perm_b32 v79, v83, v82, s64                              // 000000005D6C: D1ED004F 0102A553
	v_perm_b32 v80, v85, v84, s64                              // 000000005D74: D1ED0050 0102A955
	v_perm_b32 v81, v87, v86, s64                              // 000000005D7C: D1ED0051 0102AD57
	v_mfma_f32_16x16x16_bf16 v[198:201], v[126:127], v[166:167], v[198:201]// 000000005D84: D3E100C6 071B4D7E
	v_mov_b32_dpp v18, v76 quad_perm:[1,0,3,2] row_mask:0xf bank_mask:0xf// 000000005D8C: 7E2402FA FF00B14C
	v_perm_b32 v52, v18, v76, v17                              // 000000005D94: D1ED0034 04469912
	v_mov_b32_dpp v18, v77 quad_perm:[1,0,3,2] row_mask:0xf bank_mask:0xf// 000000005D9C: 7E2402FA FF00B14D
	v_perm_b32 v53, v18, v77, v17                              // 000000005DA4: D1ED0035 04469B12
	v_mov_b32_dpp v18, v78 quad_perm:[1,0,3,2] row_mask:0xf bank_mask:0xf// 000000005DAC: 7E2402FA FF00B14E
	v_perm_b32 v54, v18, v78, v17                              // 000000005DB4: D1ED0036 04469D12
	v_mfma_f32_16x16x16_bf16 v[202:205], v[128:129], v[166:167], v[202:205]// 000000005DBC: D3E100CA 072B4D80
	v_mov_b32_dpp v18, v79 quad_perm:[1,0,3,2] row_mask:0xf bank_mask:0xf// 000000005DC4: 7E2402FA FF00B14F
	v_perm_b32 v55, v18, v79, v17                              // 000000005DCC: D1ED0037 04469F12
	v_mov_b32_dpp v18, v80 quad_perm:[1,0,3,2] row_mask:0xf bank_mask:0xf// 000000005DD4: 7E2402FA FF00B150
	v_perm_b32 v56, v18, v80, v17                              // 000000005DDC: D1ED0038 0446A112
	v_mov_b32_dpp v18, v81 quad_perm:[1,0,3,2] row_mask:0xf bank_mask:0xf// 000000005DE4: 7E2402FA FF00B151
	v_perm_b32 v57, v18, v81, v17                              // 000000005DEC: D1ED0039 0446A312
	v_mfma_f32_16x16x16_bf16 v[206:209], v[130:131], v[166:167], v[206:209]// 000000005DF4: D3E100CE 073B4D82
	ds_write_b32 v20, v52 offset:17408                         // 000000005DFC: D81A4400 00003414
	ds_write_b32 v20, v53 offset:17952                         // 000000005E04: D81A4620 00003514
	v_mfma_f32_16x16x16_bf16 v[210:213], v[124:125], v[168:169], v[210:213]// 000000005E0C: D3E100D2 074B517C
	v_subrev_f32_dpp v88, v177, v88 quad_perm:[0,0,0,0] row_mask:0xf bank_mask:0xf// 000000005E14: 06B0B0FA FF0000B1
	v_subrev_f32_dpp v89, v177, v89 quad_perm:[1,1,1,1] row_mask:0xf bank_mask:0xf// 000000005E1C: 06B2B2FA FF0055B1
	v_subrev_f32_dpp v90, v177, v90 quad_perm:[2,2,2,2] row_mask:0xf bank_mask:0xf// 000000005E24: 06B4B4FA FF00AAB1
	v_subrev_f32_dpp v91, v177, v91 quad_perm:[3,3,3,3] row_mask:0xf bank_mask:0xf// 000000005E2C: 06B6B6FA FF00FFB1
	v_subrev_f32_dpp v92, v177, v92 quad_perm:[0,0,0,0] row_mask:0xf bank_mask:0xf// 000000005E34: 06B8B8FA FF0000B1
	v_subrev_f32_dpp v93, v177, v93 quad_perm:[1,1,1,1] row_mask:0xf bank_mask:0xf// 000000005E3C: 06BABAFA FF0055B1
	v_mfma_f32_16x16x16_bf16 v[214:217], v[126:127], v[168:169], v[214:217]// 000000005E44: D3E100D6 075B517E
	ds_write_b32 v20, v54 offset:19712                         // 000000005E4C: D81A4D00 00003614
	ds_write_b32 v20, v55 offset:20256                         // 000000005E54: D81A4F20 00003714
	v_mfma_f32_16x16x16_bf16 v[218:221], v[128:129], v[168:169], v[218:221]// 000000005E5C: D3E100DA 076B5180
	v_subrev_f32_dpp v94, v177, v94 quad_perm:[2,2,2,2] row_mask:0xf bank_mask:0xf// 000000005E64: 06BCBCFA FF00AAB1
	v_subrev_f32_dpp v95, v177, v95 quad_perm:[3,3,3,3] row_mask:0xf bank_mask:0xf// 000000005E6C: 06BEBEFA FF00FFB1
	v_subrev_f32_dpp v96, v177, v96 quad_perm:[0,0,0,0] row_mask:0xf bank_mask:0xf// 000000005E74: 06C0C0FA FF0000B1
	v_subrev_f32_dpp v97, v177, v97 quad_perm:[1,1,1,1] row_mask:0xf bank_mask:0xf// 000000005E7C: 06C2C2FA FF0055B1
	v_subrev_f32_dpp v98, v177, v98 quad_perm:[2,2,2,2] row_mask:0xf bank_mask:0xf// 000000005E84: 06C4C4FA FF00AAB1
	v_subrev_f32_dpp v99, v177, v99 quad_perm:[3,3,3,3] row_mask:0xf bank_mask:0xf// 000000005E8C: 06C6C6FA FF00FFB1
	v_mfma_f32_16x16x16_bf16 v[222:225], v[130:131], v[168:169], v[222:225]// 000000005E94: D3E100DE 077B5182
	ds_write_b32 v20, v56 offset:22016                         // 000000005E9C: D81A5600 00003814
	ds_write_b32 v20, v57 offset:22560                         // 000000005EA4: D81A5820 00003914
	v_mfma_f32_16x16x16_bf16 v[178:181], v[132:133], v[170:171], v[178:181]// 000000005EAC: D3E100B2 06CB5584
	v_mul_f32_e32 v88, v64, v88                                // 000000005EB4: 0AB0B140
	v_mul_f32_e32 v89, v65, v89                                // 000000005EB8: 0AB2B341
	v_mul_f32_e32 v90, v66, v90                                // 000000005EBC: 0AB4B542
	v_mul_f32_e32 v91, v67, v91                                // 000000005EC0: 0AB6B743
	v_mul_f32_e32 v92, v68, v92                                // 000000005EC4: 0AB8B944
	v_mul_f32_e32 v93, v69, v93                                // 000000005EC8: 0ABABB45
	v_mfma_f32_16x16x16_bf16 v[182:185], v[134:135], v[170:171], v[182:185]// 000000005ECC: D3E100B6 06DB5586
	v_mul_f32_e32 v94, v70, v94                                // 000000005ED4: 0ABCBD46
	v_mul_f32_e32 v95, v71, v95                                // 000000005ED8: 0ABEBF47
	v_mul_f32_e32 v96, v72, v96                                // 000000005EDC: 0AC0C148
	v_mul_f32_e32 v97, v73, v97                                // 000000005EE0: 0AC2C349
	v_mul_f32_e32 v98, v74, v98                                // 000000005EE4: 0AC4C54A
	v_mul_f32_e32 v99, v75, v99                                // 000000005EE8: 0AC6C74B
	v_mfma_f32_16x16x16_bf16 v[186:189], v[136:137], v[170:171], v[186:189]// 000000005EEC: D3E100BA 06EB5588
	v_perm_b32 v82, v89, v88, s64                              // 000000005EF4: D1ED0052 0102B159
	v_perm_b32 v83, v91, v90, s64                              // 000000005EFC: D1ED0053 0102B55B
	v_perm_b32 v84, v93, v92, s64                              // 000000005F04: D1ED0054 0102B95D
	v_perm_b32 v85, v95, v94, s64                              // 000000005F0C: D1ED0055 0102BD5F
	v_perm_b32 v86, v97, v96, s64                              // 000000005F14: D1ED0056 0102C161
	v_perm_b32 v87, v99, v98, s64                              // 000000005F1C: D1ED0057 0102C563
	v_mfma_f32_16x16x16_bf16 v[190:193], v[138:139], v[170:171], v[190:193]// 000000005F24: D3E100BE 06FB558A
	v_mov_b32_dpp v18, v82 quad_perm:[1,0,3,2] row_mask:0xf bank_mask:0xf// 000000005F2C: 7E2402FA FF00B152
	v_perm_b32 v58, v18, v82, v17                              // 000000005F34: D1ED003A 0446A512
	v_mov_b32_dpp v18, v83 quad_perm:[1,0,3,2] row_mask:0xf bank_mask:0xf// 000000005F3C: 7E2402FA FF00B153
	v_perm_b32 v59, v18, v83, v17                              // 000000005F44: D1ED003B 0446A712
	v_mov_b32_dpp v18, v84 quad_perm:[1,0,3,2] row_mask:0xf bank_mask:0xf// 000000005F4C: 7E2402FA FF00B154
	v_perm_b32 v60, v18, v84, v17                              // 000000005F54: D1ED003C 0446A912
	v_mfma_f32_16x16x16_bf16 v[194:197], v[132:133], v[172:173], v[194:197]// 000000005F5C: D3E100C2 070B5984
	v_mov_b32_dpp v18, v85 quad_perm:[1,0,3,2] row_mask:0xf bank_mask:0xf// 000000005F64: 7E2402FA FF00B155
	v_perm_b32 v61, v18, v85, v17                              // 000000005F6C: D1ED003D 0446AB12
	v_mov_b32_dpp v18, v86 quad_perm:[1,0,3,2] row_mask:0xf bank_mask:0xf// 000000005F74: 7E2402FA FF00B156
	v_perm_b32 v62, v18, v86, v17                              // 000000005F7C: D1ED003E 0446AD12
	v_mov_b32_dpp v18, v87 quad_perm:[1,0,3,2] row_mask:0xf bank_mask:0xf// 000000005F84: 7E2402FA FF00B157
	v_perm_b32 v63, v18, v87, v17                              // 000000005F8C: D1ED003F 0446AF12
	v_mfma_f32_16x16x16_bf16 v[198:201], v[134:135], v[172:173], v[198:201]// 000000005F94: D3E100C6 071B5986
	ds_write_b32 v20, v58 offset:24320                         // 000000005F9C: D81A5F00 00003A14
	ds_write_b32 v20, v59 offset:24864                         // 000000005FA4: D81A6120 00003B14
	v_mfma_f32_16x16x16_bf16 v[202:205], v[136:137], v[172:173], v[202:205]// 000000005FAC: D3E100CA 072B5988
	v_mfma_f32_16x16x16_bf16 v[206:209], v[138:139], v[172:173], v[206:209]// 000000005FB4: D3E100CE 073B598A
	ds_write_b32 v20, v60 offset:26624                         // 000000005FBC: D81A6800 00003C14
	ds_write_b32 v20, v61 offset:27168                         // 000000005FC4: D81A6A20 00003D14
	ds_write_b32 v20, v62 offset:28928                         // 000000005FCC: D81A7100 00003E14
	ds_write_b32 v20, v63 offset:29472                         // 000000005FD4: D81A7320 00003F14
	v_mfma_f32_16x16x16_bf16 v[210:213], v[132:133], v[174:175], v[210:213]// 000000005FDC: D3E100D2 074B5D84
	v_mfma_f32_16x16x16_bf16 v[214:217], v[134:135], v[174:175], v[214:217]// 000000005FE4: D3E100D6 075B5D86
	ds_write_b32 v15, v100 offset:4352                         // 000000005FEC: D81A1100 0000640F
	ds_write_b32 v15, v101 offset:5408                         // 000000005FF4: D81A1520 0000650F
	v_mfma_f32_16x16x16_bf16 v[218:221], v[136:137], v[174:175], v[218:221]// 000000005FFC: D3E100DA 076B5D88
	s_nop 0                                                    // 000000006004: BF800000
	s_nop 0                                                    // 000000006008: BF800000
	s_nop 0                                                    // 00000000600C: BF800000
	v_mfma_f32_16x16x16_bf16 v[222:225], v[138:139], v[174:175], v[222:225]// 000000006010: D3E100DE 077B5D8A
	ds_write_b32 v15, v102 offset:6528                         // 000000006018: D81A1980 0000660F
	ds_write_b32 v15, v103 offset:7584                         // 000000006020: D81A1DA0 0000670F
	s_barrier                                                  // 000000006028: BF8A0000
	v_mfma_f32_16x16x16_bf16 a[112:115], a[96:97], v[76:77], a[112:115]// 00000000602C: D3E18070 0DC29960
	buffer_atomic_add_f32 v156, v6, s[32:35], 0 idxen          // 000000006034: E1342000 80089C06
	v_mfma_f32_16x16x16_bf16 a[116:119], a[98:99], v[76:77], a[116:119]// 00000000603C: D3E18074 0DD29962
	ds_read_b32 v140, v23 offset:39936                         // 000000006044: D86C9C00 8C000017
	ds_read_b32 v144, v23 offset:40000                         // 00000000604C: D86C9C40 90000017
	ds_read_b32 v176, v23 offset:40192                         // 000000006054: D86C9D00 B0000017
	ds_read_b32 v177, v23 offset:40256                         // 00000000605C: D86C9D40 B1000017
	v_mfma_f32_16x16x16_bf16 a[120:123], a[100:101], v[76:77], a[120:123]// 000000006064: D3E18078 0DE29964
	s_waitcnt lgkmcnt(8)                                       // 00000000606C: BF8CC87F
	s_barrier                                                  // 000000006070: BF8A0000
	v_mfma_f32_16x16x16_bf16 a[124:127], a[102:103], v[76:77], a[124:127]// 000000006074: D3E1807C 0DF29966
	ds_read_b128 v[52:55], v19 offset:17408                    // 00000000607C: D9FE4400 34000013
	v_mfma_f32_16x16x16_bf16 a[128:131], a[96:97], v[78:79], a[128:131]// 000000006084: D3E18080 0E029D60
	v_mfma_f32_16x16x16_bf16 a[132:135], a[98:99], v[78:79], a[132:135]// 00000000608C: D3E18084 0E129D62
	ds_read_b128 v[56:59], v19 offset:18560                    // 000000006094: D9FE4880 38000013
	v_mfma_f32_16x16x16_bf16 a[136:139], a[100:101], v[78:79], a[136:139]// 00000000609C: D3E18088 0E229D64
	buffer_atomic_add_f32 v157, v7, s[32:35], 0 idxen          // 0000000060A4: E1342000 80089D07
	v_mfma_f32_16x16x16_bf16 a[140:143], a[102:103], v[78:79], a[140:143]// 0000000060AC: D3E1808C 0E329D66
	ds_read_b128 v[60:63], v19 offset:19712                    // 0000000060B4: D9FE4D00 3C000013
	v_mfma_f32_16x16x16_bf16 a[144:147], a[96:97], v[80:81], a[144:147]// 0000000060BC: D3E18090 0E42A160
	v_mfma_f32_16x16x16_bf16 a[148:151], a[98:99], v[80:81], a[148:151]// 0000000060C4: D3E18094 0E52A162
	ds_read_b128 v[64:67], v19 offset:20864                    // 0000000060CC: D9FE5180 40000013
	v_mfma_f32_16x16x16_bf16 a[152:155], a[100:101], v[80:81], a[152:155]// 0000000060D4: D3E18098 0E62A164
	v_mfma_f32_16x16x16_bf16 a[156:159], a[102:103], v[80:81], a[156:159]// 0000000060DC: D3E1809C 0E72A166
	ds_read_b128 v[68:71], v19 offset:22016                    // 0000000060E4: D9FE5600 44000013
	v_mfma_f32_16x16x16_bf16 a[112:115], a[104:105], v[82:83], a[112:115]// 0000000060EC: D3E18070 0DC2A568
	buffer_atomic_add_f32 v158, v6, s[32:35], 0 idxen offset:128// 0000000060F4: E1342080 80089E06
	v_mfma_f32_16x16x16_bf16 a[116:119], a[106:107], v[82:83], a[116:119]// 0000000060FC: D3E18074 0DD2A56A
	ds_read_b128 v[72:75], v19 offset:23168                    // 000000006104: D9FE5A80 48000013
	v_mfma_f32_16x16x16_bf16 a[120:123], a[108:109], v[82:83], a[120:123]// 00000000610C: D3E18078 0DE2A56C
	v_mfma_f32_16x16x16_bf16 a[124:127], a[110:111], v[82:83], a[124:127]// 000000006114: D3E1807C 0DF2A56E
	ds_write_b32 v15, v104 offset:13056                        // 00000000611C: D81A3300 0000680F
	v_mfma_f32_16x16x16_bf16 a[128:131], a[104:105], v[84:85], a[128:131]// 000000006124: D3E18080 0E02A968
	v_mfma_f32_16x16x16_bf16 a[132:135], a[106:107], v[84:85], a[132:135]// 00000000612C: D3E18084 0E12A96A
	ds_write_b32 v15, v105 offset:14112                        // 000000006134: D81A3720 0000690F
	v_mfma_f32_16x16x16_bf16 a[136:139], a[108:109], v[84:85], a[136:139]// 00000000613C: D3E18088 0E22A96C
	buffer_atomic_add_f32 v159, v7, s[32:35], 0 idxen offset:128// 000000006144: E1342080 80089F07
	v_mfma_f32_16x16x16_bf16 a[140:143], a[110:111], v[84:85], a[140:143]// 00000000614C: D3E1808C 0E32A96E
	ds_write_b32 v15, v106 offset:15232                        // 000000006154: D81A3B80 00006A0F
	v_mfma_f32_16x16x16_bf16 a[144:147], a[104:105], v[86:87], a[144:147]// 00000000615C: D3E18090 0E42AD68
	v_mfma_f32_16x16x16_bf16 a[148:151], a[106:107], v[86:87], a[148:151]// 000000006164: D3E18094 0E52AD6A
	ds_write_b32 v15, v107 offset:16288                        // 00000000616C: D81A3FA0 00006B0F
	v_mfma_f32_16x16x16_bf16 a[152:155], a[108:109], v[86:87], a[152:155]// 000000006174: D3E18098 0E62AD6C
	v_mfma_f32_16x16x16_bf16 a[156:159], a[110:111], v[86:87], a[156:159]// 00000000617C: D3E1809C 0E72AD6E
	s_waitcnt vmcnt(8) lgkmcnt(4)                              // 000000006184: BF8C0478
	s_barrier                                                  // 000000006188: BF8A0000
	v_mfma_f32_16x16x16_bf16 v[148:151], v[52:53], a[24:25], 0 // 00000000618C: D3E10094 12023134
	v_mul_f32_e32 v140, s48, v140                              // 000000006194: 0B191830
	v_mul_f32_e32 v144, s48, v144                              // 000000006198: 0B212030
	s_nop 0                                                    // 00000000619C: BF800000
	v_mfma_f32_16x16x16_bf16 v[148:151], v[54:55], a[28:29], v[148:151]// 0000000061A0: D3E10094 16523936
	ds_read_b128 a[96:99], v12                                 // 0000000061A8: DBFE0000 6000000C
	buffer_load_dword v40, v1, s[8:11], 0 idxen                // 0000000061B0: E0502000 80022801
	v_mfma_f32_16x16x16_bf16 v[148:151], v[56:57], a[32:33], v[148:151]// 0000000061B8: D3E10094 16524138
	v_mfma_f32_16x16x16_bf16 v[148:151], v[58:59], a[36:37], v[148:151]// 0000000061C0: D3E10094 1652493A
	ds_read_b128 a[100:103], v12 offset:512                    // 0000000061C8: DBFE0200 6400000C
	buffer_load_dword v41, v2, s[8:11], 0 idxen                // 0000000061D0: E0502000 80022902
	v_mfma_f32_16x16x16_bf16 v[148:151], v[60:61], a[40:41], v[148:151]// 0000000061D8: D3E10094 1652513C
	v_perm_b32 v100, v37, v36, s63                             // 0000000061E0: D1ED0064 00FE4925
	v_perm_b32 v101, v37, v36, s64                             // 0000000061E8: D1ED0065 01024925
	v_mfma_f32_16x16x16_bf16 v[148:151], v[62:63], a[44:45], v[148:151]// 0000000061F0: D3E10094 1652593E
	ds_read_b128 a[104:107], v12 offset:2176                   // 0000000061F8: DBFE0880 6800000C
	buffer_load_dword v42, v3, s[8:11], 0 idxen                // 000000006200: E0502000 80022A03
	v_mfma_f32_16x16x16_bf16 v[148:151], v[64:65], a[48:49], v[148:151]// 000000006208: D3E10094 16526140
	v_perm_b32 v102, v39, v38, s63                             // 000000006210: D1ED0066 00FE4D27
	v_perm_b32 v103, v39, v38, s64                             // 000000006218: D1ED0067 01024D27
	v_mfma_f32_16x16x16_bf16 v[148:151], v[66:67], a[52:53], v[148:151]// 000000006220: D3E10094 16526942
	ds_read_b128 a[108:111], v12 offset:2688                   // 000000006228: DBFE0A80 6C00000C
	buffer_load_dword v43, v4, s[8:11], 0 idxen                // 000000006230: E0502000 80022B04
	v_mfma_f32_16x16x16_bf16 v[148:151], v[68:69], a[56:57], v[148:151]// 000000006238: D3E10094 16527144
	v_perm_b32 v104, v45, v44, s63                             // 000000006240: D1ED0068 00FE592D
	v_perm_b32 v105, v45, v44, s64                             // 000000006248: D1ED0069 0102592D
	v_mfma_f32_16x16x16_bf16 v[148:151], v[70:71], a[60:61], v[148:151]// 000000006250: D3E10094 16527946
	ds_read_b128 v[108:111], v12 offset:8704                   // 000000006258: D9FE2200 6C00000C
	buffer_load_dword v48, v231, s[20:23], 0 idxen             // 000000006260: E0502000 800530E7
	v_mfma_f32_16x16x16_bf16 v[148:151], v[72:73], a[64:65], v[148:151]// 000000006268: D3E10094 16528148
	v_perm_b32 v106, v47, v46, s63                             // 000000006270: D1ED006A 00FE5D2F
	v_perm_b32 v107, v47, v46, s64                             // 000000006278: D1ED006B 01025D2F
	v_mfma_f32_16x16x16_bf16 v[148:151], v[74:75], a[68:69], v[148:151]// 000000006280: D3E10094 1652894A
	ds_read_b128 v[112:115], v12 offset:9216                   // 000000006288: D9FE2400 7000000C
	buffer_load_dword v49, v232, s[20:23], 0 idxen             // 000000006290: E0502000 800531E8
	v_mfma_f32_16x16x16_bf16 v[152:155], v[52:53], a[26:27], 0 // 000000006298: D3E10098 12023534
	v_mov_b32_dpp v143, v140 quad_perm:[3,3,3,3] row_mask:0xf bank_mask:0xf// 0000000062A0: 7F1E02FA FF00FF8C
	v_mov_b32_dpp v142, v140 quad_perm:[2,2,2,2] row_mask:0xf bank_mask:0xf// 0000000062A8: 7F1C02FA FF00AA8C
	v_mov_b32_dpp v141, v140 quad_perm:[1,1,1,1] row_mask:0xf bank_mask:0xf// 0000000062B0: 7F1A02FA FF00558C
	v_mov_b32_dpp v140, v140 quad_perm:[0,0,0,0] row_mask:0xf bank_mask:0xf// 0000000062B8: 7F1802FA FF00008C
	v_mfma_f32_16x16x16_bf16 v[152:155], v[54:55], a[30:31], v[152:155]// 0000000062C0: D3E10098 16623D36
	ds_read_b128 v[116:119], v12 offset:10880                  // 0000000062C8: D9FE2A80 7400000C
	buffer_load_dword v50, v233, s[20:23], 0 idxen             // 0000000062D0: E0502000 800532E9
	v_mfma_f32_16x16x16_bf16 v[152:155], v[56:57], a[34:35], v[152:155]// 0000000062D8: D3E10098 16624538
	v_mov_b32_dpp v147, v144 quad_perm:[3,3,3,3] row_mask:0xf bank_mask:0xf// 0000000062E0: 7F2602FA FF00FF90
	v_mov_b32_dpp v146, v144 quad_perm:[2,2,2,2] row_mask:0xf bank_mask:0xf// 0000000062E8: 7F2402FA FF00AA90
	v_mov_b32_dpp v145, v144 quad_perm:[1,1,1,1] row_mask:0xf bank_mask:0xf// 0000000062F0: 7F2202FA FF005590
	v_mov_b32_dpp v144, v144 quad_perm:[0,0,0,0] row_mask:0xf bank_mask:0xf// 0000000062F8: 7F2002FA FF000090
	s_add_u32 s60, 0x80, s59                                   // 000000006300: 803C3BFF 00000080
	v_mfma_f32_16x16x16_bf16 v[152:155], v[58:59], a[38:39], v[152:155]// 000000006308: D3E10098 16624D3A
	ds_read_b128 v[120:123], v12 offset:11392                  // 000000006310: D9FE2C80 7800000C
	buffer_load_dword v51, v234, s[20:23], 0 idxen             // 000000006318: E0502000 800533EA
	v_mfma_f32_16x16x16_bf16 v[152:155], v[60:61], a[42:43], v[152:155]// 000000006320: D3E10098 1662553C
	s_cmp_lt_u32 s60, s58                                      // 000000006328: BF0A3A3C
	s_cselect_b32 s68, s68, 0                                  // 00000000632C: 85448044
	s_cselect_b32 s81, s81, 0                                  // 000000006330: 85518051
	s_cselect_b32 s69, s69, 0                                  // 000000006334: 85458045
	v_mfma_f32_16x16x16_bf16 v[152:155], v[62:63], a[46:47], v[152:155]// 000000006338: D3E10098 16625D3E
	buffer_load_dword v11, s[24:27], 0 idxen lds               // 000000006340: E0512000 8006000B
	v_mfma_f32_16x16x16_bf16 v[152:155], v[64:65], a[50:51], v[152:155]// 000000006348: D3E10098 16626540
	v_add_u32_e32 v1, s68, v1                                  // 000000006350: 68020244
	v_add_u32_e32 v2, s68, v2                                  // 000000006354: 68040444
	;; [unrolled: 1-line block ×3, first 2 shown]
	v_add_u32_e32 v4, s68, v4                                  // 00000000635C: 68080844
	v_mfma_f32_16x16x16_bf16 v[152:155], v[66:67], a[54:55], v[152:155]// 000000006360: D3E10098 16626D42
	v_add_u32_e32 v231, s81, v231                              // 000000006368: 69CFCE51
	v_add_u32_e32 v232, s81, v232                              // 00000000636C: 69D1D051
	v_add_u32_e32 v233, s81, v233                              // 000000006370: 69D3D251
	v_add_u32_e32 v234, s81, v234                              // 000000006374: 69D5D451
	v_mfma_f32_16x16x16_bf16 v[152:155], v[68:69], a[58:59], v[152:155]// 000000006378: D3E10098 16627544
	s_mov_b32 m0, s76                                          // 000000006380: BEFC004C
	v_add_u32_e32 v11, s69, v11                                // 000000006384: 68161645
	v_mfma_f32_16x16x16_bf16 v[152:155], v[70:71], a[62:63], v[152:155]// 000000006388: D3E10098 16627D46
	s_cmp_ge_u32 s59, 32                                       // 000000006390: BF09A03B
	s_cselect_b32 s66, s67, s66                                // 000000006394: 85424243
	v_mfma_f32_16x16x16_bf16 v[152:155], v[72:73], a[66:67], v[152:155]// 000000006398: D3E10098 16628548
	s_addk_i32 s59, 0x20                                       // 0000000063A0: B73B0020
	s_nop 0                                                    // 0000000063A4: BF800000
	s_cmp_lt_i32 s59, s58                                      // 0000000063A8: BF043A3B
	v_mfma_f32_16x16x16_bf16 v[152:155], v[74:75], a[70:71], v[152:155]// 0000000063AC: D3E10098 16628D4A
	s_cbranch_scc0 label_0CC2                                  // 0000000063B4: BF840342
	s_waitcnt lgkmcnt(4)                                       // 0000000063B8: BF8CC47F
	s_barrier                                                  // 0000000063BC: BF8A0000
	v_mfma_f32_16x16x16_bf16 v[52:55], a[96:97], a[0:1], 0     // 0000000063C0: D3E10034 1A020160
	ds_write_b32 v13, v44 offset:8704                          // 0000000063C8: D81A2200 00002C0D
	ds_write_b32 v13, v45 offset:9760                          // 0000000063D0: D81A2620 00002D0D
	v_mfma_f32_16x16x16_bf16 v[52:55], a[98:99], a[2:3], v[52:55]// 0000000063D8: D3E10034 1CD20562
	v_mul_f32_e32 v148, s47, v148                              // 0000000063E0: 0B29282F
	v_mul_f32_e32 v149, s47, v149                              // 0000000063E4: 0B2B2A2F
	v_mfma_f32_16x16x16_bf16 v[52:55], a[100:101], a[4:5], v[52:55]// 0000000063E8: D3E10034 1CD20964
	ds_write_b32 v13, v46 offset:10880                         // 0000000063F0: D81A2A80 00002E0D
	ds_write_b32 v13, v47 offset:11936                         // 0000000063F8: D81A2EA0 00002F0D
	v_mfma_f32_16x16x16_bf16 v[52:55], a[102:103], a[6:7], v[52:55]// 000000006400: D3E10034 1CD20D66
	v_mul_f32_e32 v150, s47, v150                              // 000000006408: 0B2D2C2F
	v_mul_f32_e32 v151, s47, v151                              // 00000000640C: 0B2F2E2F
	v_mfma_f32_16x16x16_bf16 v[56:59], a[96:97], a[8:9], 0     // 000000006410: D3E10038 1A021160
	ds_write_b64 v22, v[148:149] offset:31232                  // 000000006418: D89A7A00 00009416
	v_mfma_f32_16x16x16_bf16 v[56:59], a[98:99], a[10:11], v[56:59]// 000000006420: D3E10038 1CE21562
	v_mul_f32_e32 v152, s47, v152                              // 000000006428: 0B31302F
	v_mul_f32_e32 v153, s47, v153                              // 00000000642C: 0B33322F
	v_mfma_f32_16x16x16_bf16 v[56:59], a[100:101], a[12:13], v[56:59]// 000000006430: D3E10038 1CE21964
	ds_write_b64 v22, v[150:151] offset:31744                  // 000000006438: D89A7C00 00009616
	v_mfma_f32_16x16x16_bf16 v[56:59], a[102:103], a[14:15], v[56:59]// 000000006440: D3E10038 1CE21D66
	v_mul_f32_e32 v154, s47, v154                              // 000000006448: 0B35342F
	v_mul_f32_e32 v155, s47, v155                              // 00000000644C: 0B37362F
	v_mfma_f32_16x16x16_bf16 v[60:63], a[96:97], a[16:17], 0   // 000000006450: D3E1003C 1A022160
	ds_write_b64 v22, v[152:153] offset:32256                  // 000000006458: D89A7E00 00009816
	v_mfma_f32_16x16x16_bf16 v[60:63], a[98:99], a[18:19], v[60:63]// 000000006460: D3E1003C 1CF22562
	buffer_atomic_add_f32 v160, v8, s[32:35], 0 idxen          // 000000006468: E1342000 8008A008
	v_mfma_f32_16x16x16_bf16 v[60:63], a[100:101], a[20:21], v[60:63]// 000000006470: D3E1003C 1CF22964
	ds_write_b64 v22, v[154:155] offset:32768                  // 000000006478: D89A8000 00009A16
	v_mfma_f32_16x16x16_bf16 v[60:63], a[102:103], a[22:23], v[60:63]// 000000006480: D3E1003C 1CF22D66
	v_mfma_f32_16x16x16_bf16 v[64:67], a[104:105], a[0:1], 0   // 000000006488: D3E10040 1A020168
	ds_read_b128 v[124:127], v14 offset:13056                  // 000000006490: D9FE3300 7C00000E
	ds_write_b32 v13, v36                                      // 000000006498: D81A0000 0000240D
	v_mfma_f32_16x16x16_bf16 v[64:67], a[106:107], a[2:3], v[64:67]// 0000000064A0: D3E10040 1D02056A
	buffer_atomic_add_f32 v161, v9, s[32:35], 0 idxen          // 0000000064A8: E1342000 8008A109
	v_mfma_f32_16x16x16_bf16 v[64:67], a[108:109], a[4:5], v[64:67]// 0000000064B0: D3E10040 1D02096C
	v_mfma_f32_16x16x16_bf16 v[64:67], a[110:111], a[6:7], v[64:67]// 0000000064B8: D3E10040 1D020D6E
	ds_read_b128 v[128:131], v14 offset:13568                  // 0000000064C0: D9FE3500 8000000E
	ds_write_b32 v13, v37 offset:1056                          // 0000000064C8: D81A0420 0000250D
	v_mfma_f32_16x16x16_bf16 v[68:71], a[104:105], a[8:9], 0   // 0000000064D0: D3E10044 1A021168
	buffer_atomic_add_f32 v162, v8, s[32:35], 0 idxen offset:128// 0000000064D8: E1342080 8008A208
	v_mfma_f32_16x16x16_bf16 v[68:71], a[106:107], a[10:11], v[68:71]// 0000000064E0: D3E10044 1D12156A
	v_mfma_f32_16x16x16_bf16 v[68:71], a[108:109], a[12:13], v[68:71]// 0000000064E8: D3E10044 1D12196C
	ds_read_b128 v[132:135], v14 offset:15232                  // 0000000064F0: D9FE3B80 8400000E
	ds_write_b32 v13, v38 offset:2176                          // 0000000064F8: D81A0880 0000260D
	v_mfma_f32_16x16x16_bf16 v[68:71], a[110:111], a[14:15], v[68:71]// 000000006500: D3E10044 1D121D6E
	v_mfma_f32_16x16x16_bf16 v[72:75], a[104:105], a[16:17], 0 // 000000006508: D3E10048 1A022168
	buffer_atomic_add_f32 v163, v9, s[32:35], 0 idxen offset:128// 000000006510: E1342080 8008A309
	v_mfma_f32_16x16x16_bf16 v[72:75], a[106:107], a[18:19], v[72:75]// 000000006518: D3E10048 1D22256A
	ds_read_b128 v[136:139], v14 offset:15744                  // 000000006520: D9FE3D80 8800000E
	ds_write_b32 v13, v39 offset:3232                          // 000000006528: D81A0CA0 0000270D
	v_mfma_f32_16x16x16_bf16 v[72:75], a[108:109], a[20:21], v[72:75]// 000000006530: D3E10048 1D22296C
	v_mfma_f32_16x16x16_bf16 v[72:75], a[110:111], a[22:23], v[72:75]// 000000006538: D3E10048 1D222D6E
	s_cmp_lt_i32 s83, 0xc0                                     // 000000006540: BF04FF53 000000C0
	s_cbranch_scc0 label_0A52                                  // 000000006548: BF84006D
	s_cmp_le_i32 s83, 64                                       // 00000000654C: BF05C053
	s_cbranch_scc1 label_09E5                                  // 000000006550: BF850007
	s_cmp_le_i32 s83, 0x80                                     // 000000006554: BF05FF53 00000080
	s_cbranch_scc1 label_0A09                                  // 00000000655C: BF85001F
	s_cmp_lt_i32 s83, 0xc0                                     // 000000006560: BF04FF53 000000C0
	s_cbranch_scc1 label_0A2D                                  // 000000006568: BF850040
	s_branch label_0A52                                        // 00000000656C: BF820064

0000000000006570 <label_09E5>:
	s_mov_b32 s60, 0                                           // 000000006570: BEBC0080
	v_and_b32_e32 v32, 15, v0                                  // 000000006574: 2640008F
	v_add_u32_e64 v32, v32, s60                                // 000000006578: D1340020 00007920
	v_mul_i32_i24_e64 v33, s46, 16                             // 000000006580: D1060021 0001202E
	v_add_u32_e32 v32, v32, v33                                // 000000006588: 68404320
	v_cmp_lt_u32_e64 s[60:61], v32, s83                        // 00000000658C: D0C9003C 0000A720
	s_nop 1                                                    // 000000006594: BF800001
	v_cndmask_b32_e64 v52, v230, v52, s[60:61]                 // 000000006598: D1000034 00F269E6
	v_cndmask_b32_e64 v64, v230, v64, s[60:61]                 // 0000000065A0: D1000040 00F281E6
	v_cndmask_b32_e64 v53, v230, v53, s[60:61]                 // 0000000065A8: D1000035 00F26BE6
	v_cndmask_b32_e64 v65, v230, v65, s[60:61]                 // 0000000065B0: D1000041 00F283E6
	v_cndmask_b32_e64 v54, v230, v54, s[60:61]                 // 0000000065B8: D1000036 00F26DE6
	v_cndmask_b32_e64 v66, v230, v66, s[60:61]                 // 0000000065C0: D1000042 00F285E6
	v_cndmask_b32_e64 v55, v230, v55, s[60:61]                 // 0000000065C8: D1000037 00F26FE6
	v_cndmask_b32_e64 v67, v230, v67, s[60:61]                 // 0000000065D0: D1000043 00F287E6
	s_branch label_0A24                                        // 0000000065D8: BF82001B

00000000000065dc <label_0A09>:
	s_mov_b32 s60, 64                                          // 0000000065DC: BEBC00C0
	v_and_b32_e32 v32, 15, v0                                  // 0000000065E0: 2640008F
	v_add_u32_e64 v32, v32, s60                                // 0000000065E4: D1340020 00007920
	v_mul_i32_i24_e64 v33, s46, 16                             // 0000000065EC: D1060021 0001202E
	v_add_u32_e32 v32, v32, v33                                // 0000000065F4: 68404320
	v_cmp_lt_u32_e64 s[60:61], v32, s83                        // 0000000065F8: D0C9003C 0000A720
	s_nop 1                                                    // 000000006600: BF800001
	v_cndmask_b32_e64 v56, v230, v56, s[60:61]                 // 000000006604: D1000038 00F271E6
	v_cndmask_b32_e64 v68, v230, v68, s[60:61]                 // 00000000660C: D1000044 00F289E6
	v_cndmask_b32_e64 v57, v230, v57, s[60:61]                 // 000000006614: D1000039 00F273E6
	v_cndmask_b32_e64 v69, v230, v69, s[60:61]                 // 00000000661C: D1000045 00F28BE6
	v_cndmask_b32_e64 v58, v230, v58, s[60:61]                 // 000000006624: D100003A 00F275E6
	v_cndmask_b32_e64 v70, v230, v70, s[60:61]                 // 00000000662C: D1000046 00F28DE6
	v_cndmask_b32_e64 v59, v230, v59, s[60:61]                 // 000000006634: D100003B 00F277E6
	v_cndmask_b32_e64 v71, v230, v71, s[60:61]                 // 00000000663C: D1000047 00F28FE6
	s_branch label_0A49                                        // 000000006644: BF820025

0000000000006648 <label_0A24>:
	v_mov_b32_e32 v56, v230                                    // 000000006648: 7E7003E6
	v_mov_b32_e32 v68, v230                                    // 00000000664C: 7E8803E6
	v_mov_b32_e32 v57, v230                                    // 000000006650: 7E7203E6
	v_mov_b32_e32 v69, v230                                    // 000000006654: 7E8A03E6
	v_mov_b32_e32 v58, v230                                    // 000000006658: 7E7403E6
	v_mov_b32_e32 v70, v230                                    // 00000000665C: 7E8C03E6
	v_mov_b32_e32 v59, v230                                    // 000000006660: 7E7603E6
	v_mov_b32_e32 v71, v230                                    // 000000006664: 7E8E03E6
	s_branch label_0A49                                        // 000000006668: BF82001C

000000000000666c <label_0A2D>:
	s_mov_b32 s60, 0x80                                        // 00000000666C: BEBC00FF 00000080
	v_and_b32_e32 v32, 15, v0                                  // 000000006674: 2640008F
	v_add_u32_e64 v32, v32, s60                                // 000000006678: D1340020 00007920
	v_mul_i32_i24_e64 v33, s46, 16                             // 000000006680: D1060021 0001202E
	v_add_u32_e32 v32, v32, v33                                // 000000006688: 68404320
	v_cmp_lt_u32_e64 s[60:61], v32, s83                        // 00000000668C: D0C9003C 0000A720
	s_nop 1                                                    // 000000006694: BF800001
	v_cndmask_b32_e64 v60, v230, v60, s[60:61]                 // 000000006698: D100003C 00F279E6
	v_cndmask_b32_e64 v72, v230, v72, s[60:61]                 // 0000000066A0: D1000048 00F291E6
	v_cndmask_b32_e64 v61, v230, v61, s[60:61]                 // 0000000066A8: D100003D 00F27BE6
	v_cndmask_b32_e64 v73, v230, v73, s[60:61]                 // 0000000066B0: D1000049 00F293E6
	v_cndmask_b32_e64 v62, v230, v62, s[60:61]                 // 0000000066B8: D100003E 00F27DE6
	v_cndmask_b32_e64 v74, v230, v74, s[60:61]                 // 0000000066C0: D100004A 00F295E6
	v_cndmask_b32_e64 v63, v230, v63, s[60:61]                 // 0000000066C8: D100003F 00F27FE6
	v_cndmask_b32_e64 v75, v230, v75, s[60:61]                 // 0000000066D0: D100004B 00F297E6
	s_branch label_0A52                                        // 0000000066D8: BF820009

00000000000066dc <label_0A49>:
	v_mov_b32_e32 v60, v230                                    // 0000000066DC: 7E7803E6
	v_mov_b32_e32 v72, v230                                    // 0000000066E0: 7E9003E6
	v_mov_b32_e32 v61, v230                                    // 0000000066E4: 7E7A03E6
	v_mov_b32_e32 v73, v230                                    // 0000000066E8: 7E9203E6
	v_mov_b32_e32 v62, v230                                    // 0000000066EC: 7E7C03E6
	v_mov_b32_e32 v74, v230                                    // 0000000066F0: 7E9403E6
	v_mov_b32_e32 v63, v230                                    // 0000000066F4: 7E7E03E6
	v_mov_b32_e32 v75, v230                                    // 0000000066F8: 7E9603E6
	s_branch label_0A52                                        // 0000000066FC: BF820000

0000000000006700 <label_0A52>:
	s_waitcnt lgkmcnt(8)                                       // 000000006700: BF8CC87F
	s_barrier                                                  // 000000006704: BF8A0000
	v_mfma_f32_16x16x16_bf16 v[76:79], v[108:109], a[72:73], 0 // 000000006708: D3E1004C 1202916C
	ds_read_b128 a[96:99], v14 offset:4352                     // 000000006710: DBFE1100 6000000E
	ds_read_b128 a[100:103], v14 offset:4864                   // 000000006718: DBFE1300 6400000E
	v_mfma_f32_16x16x16_bf16 v[76:79], v[110:111], a[74:75], v[76:79]// 000000006720: D3E1004C 1532956E
	v_fma_f32 v52, v52, s57, -v140                             // 000000006728: D1CB0034 86307334
	v_fma_f32 v53, v53, s57, -v141                             // 000000006730: D1CB0035 86347335
	v_fma_f32 v54, v54, s57, -v142                             // 000000006738: D1CB0036 86387336
	v_fma_f32 v55, v55, s57, -v143                             // 000000006740: D1CB0037 863C7337
	v_fma_f32 v56, v56, s57, -v140                             // 000000006748: D1CB0038 86307338
	v_fma_f32 v57, v57, s57, -v141                             // 000000006750: D1CB0039 86347339
	v_mfma_f32_16x16x16_bf16 v[76:79], v[112:113], a[76:77], v[76:79]// 000000006758: D3E1004C 15329970
	v_fma_f32 v58, v58, s57, -v142                             // 000000006760: D1CB003A 8638733A
	v_fma_f32 v59, v59, s57, -v143                             // 000000006768: D1CB003B 863C733B
	v_fma_f32 v60, v60, s57, -v140                             // 000000006770: D1CB003C 8630733C
	v_fma_f32 v61, v61, s57, -v141                             // 000000006778: D1CB003D 8634733D
	v_fma_f32 v62, v62, s57, -v142                             // 000000006780: D1CB003E 8638733E
	v_fma_f32 v63, v63, s57, -v143                             // 000000006788: D1CB003F 863C733F
	v_mfma_f32_16x16x16_bf16 v[76:79], v[114:115], a[78:79], v[76:79]// 000000006790: D3E1004C 15329D72
	v_fma_f32 v64, v64, s57, -v144                             // 000000006798: D1CB0040 86407340
	v_fma_f32 v65, v65, s57, -v145                             // 0000000067A0: D1CB0041 86447341
	v_fma_f32 v66, v66, s57, -v146                             // 0000000067A8: D1CB0042 86487342
	v_fma_f32 v67, v67, s57, -v147                             // 0000000067B0: D1CB0043 864C7343
	v_fma_f32 v68, v68, s57, -v144                             // 0000000067B8: D1CB0044 86407344
	v_fma_f32 v69, v69, s57, -v145                             // 0000000067C0: D1CB0045 86447345
	v_mfma_f32_16x16x16_bf16 v[80:83], v[108:109], a[80:81], 0 // 0000000067C8: D3E10050 1202A16C
	ds_read_b128 a[104:107], v14 offset:6528                   // 0000000067D0: DBFE1980 6800000E
	ds_read_b128 a[108:111], v14 offset:7040                   // 0000000067D8: DBFE1B80 6C00000E
	v_mfma_f32_16x16x16_bf16 v[80:83], v[110:111], a[82:83], v[80:83]// 0000000067E0: D3E10050 1542A56E
	v_fma_f32 v70, v70, s57, -v146                             // 0000000067E8: D1CB0046 86487346
	v_fma_f32 v71, v71, s57, -v147                             // 0000000067F0: D1CB0047 864C7347
	v_fma_f32 v72, v72, s57, -v144                             // 0000000067F8: D1CB0048 86407348
	v_fma_f32 v73, v73, s57, -v145                             // 000000006800: D1CB0049 86447349
	v_fma_f32 v74, v74, s57, -v146                             // 000000006808: D1CB004A 8648734A
	v_fma_f32 v75, v75, s57, -v147                             // 000000006810: D1CB004B 864C734B
	v_mfma_f32_16x16x16_bf16 v[80:83], v[112:113], a[84:85], v[80:83]// 000000006818: D3E10050 1542A970
	v_exp_f32_e32 v52, v52                                     // 000000006820: 7E684134
	v_exp_f32_e32 v53, v53                                     // 000000006824: 7E6A4135
	v_mfma_f32_16x16x16_bf16 v[80:83], v[114:115], a[86:87], v[80:83]// 000000006828: D3E10050 1542AD72
	v_exp_f32_e32 v54, v54                                     // 000000006830: 7E6C4136
	v_exp_f32_e32 v55, v55                                     // 000000006834: 7E6E4137
	v_mfma_f32_16x16x16_bf16 v[84:87], v[108:109], a[88:89], 0 // 000000006838: D3E10054 1202B16C
	ds_read_b64 v[156:157], v21 offset:31232                   // 000000006840: D8EC7A00 9C000015
	ds_read_b64 v[158:159], v21 offset:33280                   // 000000006848: D8EC8200 9E000015
	v_mfma_f32_16x16x16_bf16 v[84:87], v[110:111], a[90:91], v[84:87]// 000000006850: D3E10054 1552B56E
	v_exp_f32_e32 v56, v56                                     // 000000006858: 7E704138
	v_exp_f32_e32 v57, v57                                     // 00000000685C: 7E724139
	v_mfma_f32_16x16x16_bf16 v[84:87], v[112:113], a[92:93], v[84:87]// 000000006860: D3E10054 1552B970
	ds_read_b64 v[160:161], v21 offset:35328                   // 000000006868: D8EC8A00 A0000015
	ds_read_b64 v[162:163], v21 offset:37376                   // 000000006870: D8EC9200 A2000015
	v_mfma_f32_16x16x16_bf16 v[84:87], v[114:115], a[94:95], v[84:87]// 000000006878: D3E10054 1552BD72
	v_exp_f32_e32 v58, v58                                     // 000000006880: 7E74413A
	v_exp_f32_e32 v59, v59                                     // 000000006884: 7E76413B
	v_mfma_f32_16x16x16_bf16 v[88:91], v[116:117], a[72:73], 0 // 000000006888: D3E10058 12029174
	v_exp_f32_e32 v60, v60                                     // 000000006890: 7E78413C
	v_exp_f32_e32 v61, v61                                     // 000000006894: 7E7A413D
	v_mfma_f32_16x16x16_bf16 v[88:91], v[118:119], a[74:75], v[88:91]// 000000006898: D3E10058 15629576
	v_exp_f32_e32 v62, v62                                     // 0000000068A0: 7E7C413E
	v_exp_f32_e32 v63, v63                                     // 0000000068A4: 7E7E413F
	v_mfma_f32_16x16x16_bf16 v[88:91], v[120:121], a[76:77], v[88:91]// 0000000068A8: D3E10058 15629978
	v_exp_f32_e32 v64, v64                                     // 0000000068B0: 7E804140
	v_exp_f32_e32 v65, v65                                     // 0000000068B4: 7E824141
	v_mfma_f32_16x16x16_bf16 v[88:91], v[122:123], a[78:79], v[88:91]// 0000000068B8: D3E10058 15629D7A
	v_exp_f32_e32 v66, v66                                     // 0000000068C0: 7E844142
	v_exp_f32_e32 v67, v67                                     // 0000000068C4: 7E864143
	v_mfma_f32_16x16x16_bf16 v[92:95], v[116:117], a[80:81], 0 // 0000000068C8: D3E1005C 1202A174
	v_exp_f32_e32 v68, v68                                     // 0000000068D0: 7E884144
	v_exp_f32_e32 v69, v69                                     // 0000000068D4: 7E8A4145
	v_mfma_f32_16x16x16_bf16 v[92:95], v[118:119], a[82:83], v[92:95]// 0000000068D8: D3E1005C 1572A576
	v_exp_f32_e32 v70, v70                                     // 0000000068E0: 7E8C4146
	v_exp_f32_e32 v71, v71                                     // 0000000068E4: 7E8E4147
	v_mfma_f32_16x16x16_bf16 v[92:95], v[120:121], a[84:85], v[92:95]// 0000000068E8: D3E1005C 1572A978
	v_exp_f32_e32 v72, v72                                     // 0000000068F0: 7E904148
	v_exp_f32_e32 v73, v73                                     // 0000000068F4: 7E924149
	v_mfma_f32_16x16x16_bf16 v[92:95], v[122:123], a[86:87], v[92:95]// 0000000068F8: D3E1005C 1572AD7A
	v_exp_f32_e32 v74, v74                                     // 000000006900: 7E94414A
	v_exp_f32_e32 v75, v75                                     // 000000006904: 7E96414B
	v_mfma_f32_16x16x16_bf16 v[96:99], v[116:117], a[88:89], 0 // 000000006908: D3E10060 1202B174
	v_perm_b32 v164, v53, v52, s64                             // 000000006910: D1ED00A4 01026935
	v_perm_b32 v165, v55, v54, s64                             // 000000006918: D1ED00A5 01026D37
	v_perm_b32 v166, v57, v56, s64                             // 000000006920: D1ED00A6 01027139
	v_perm_b32 v167, v59, v58, s64                             // 000000006928: D1ED00A7 0102753B
	v_perm_b32 v168, v61, v60, s64                             // 000000006930: D1ED00A8 0102793D
	v_perm_b32 v169, v63, v62, s64                             // 000000006938: D1ED00A9 01027D3F
	v_mfma_f32_16x16x16_bf16 v[96:99], v[118:119], a[90:91], v[96:99]// 000000006940: D3E10060 1582B576
	v_perm_b32 v170, v65, v64, s64                             // 000000006948: D1ED00AA 01028141
	v_perm_b32 v171, v67, v66, s64                             // 000000006950: D1ED00AB 01028543
	v_perm_b32 v172, v69, v68, s64                             // 000000006958: D1ED00AC 01028945
	v_perm_b32 v173, v71, v70, s64                             // 000000006960: D1ED00AD 01028D47
	v_perm_b32 v174, v73, v72, s64                             // 000000006968: D1ED00AE 01029149
	v_perm_b32 v175, v75, v74, s64                             // 000000006970: D1ED00AF 0102954B
	v_mfma_f32_16x16x16_bf16 v[96:99], v[120:121], a[92:93], v[96:99]// 000000006978: D3E10060 1582B978
	v_add_u32_e32 v6, s66, v6                                  // 000000006980: 680C0C42
	v_add_u32_e32 v7, s66, v7                                  // 000000006984: 680E0E42
	v_add_u32_e32 v8, s66, v8                                  // 000000006988: 68101042
	v_add_u32_e32 v9, s66, v9                                  // 00000000698C: 68121242
	v_mfma_f32_16x16x16_bf16 v[96:99], v[122:123], a[94:95], v[96:99]// 000000006990: D3E10060 1582BD7A
	s_waitcnt lgkmcnt(0)                                       // 000000006998: BF8CC07F
	s_barrier                                                  // 00000000699C: BF8A0000
	v_mfma_f32_16x16x16_bf16 v[178:181], v[124:125], v[164:165], v[178:181]// 0000000069A0: D3E100B2 06CB497C
	v_subrev_f32_dpp v76, v176, v76 quad_perm:[0,0,0,0] row_mask:0xf bank_mask:0xf// 0000000069A8: 069898FA FF0000B0
	v_subrev_f32_dpp v77, v176, v77 quad_perm:[1,1,1,1] row_mask:0xf bank_mask:0xf// 0000000069B0: 069A9AFA FF0055B0
	v_subrev_f32_dpp v78, v176, v78 quad_perm:[2,2,2,2] row_mask:0xf bank_mask:0xf// 0000000069B8: 069C9CFA FF00AAB0
	v_subrev_f32_dpp v79, v176, v79 quad_perm:[3,3,3,3] row_mask:0xf bank_mask:0xf// 0000000069C0: 069E9EFA FF00FFB0
	v_subrev_f32_dpp v80, v176, v80 quad_perm:[0,0,0,0] row_mask:0xf bank_mask:0xf// 0000000069C8: 06A0A0FA FF0000B0
	v_subrev_f32_dpp v81, v176, v81 quad_perm:[1,1,1,1] row_mask:0xf bank_mask:0xf// 0000000069D0: 06A2A2FA FF0055B0
	v_mfma_f32_16x16x16_bf16 v[182:185], v[126:127], v[164:165], v[182:185]// 0000000069D8: D3E100B6 06DB497E
	v_subrev_f32_dpp v82, v176, v82 quad_perm:[2,2,2,2] row_mask:0xf bank_mask:0xf// 0000000069E0: 06A4A4FA FF00AAB0
	v_subrev_f32_dpp v83, v176, v83 quad_perm:[3,3,3,3] row_mask:0xf bank_mask:0xf// 0000000069E8: 06A6A6FA FF00FFB0
	v_subrev_f32_dpp v84, v176, v84 quad_perm:[0,0,0,0] row_mask:0xf bank_mask:0xf// 0000000069F0: 06A8A8FA FF0000B0
	v_subrev_f32_dpp v85, v176, v85 quad_perm:[1,1,1,1] row_mask:0xf bank_mask:0xf// 0000000069F8: 06AAAAFA FF0055B0
	v_subrev_f32_dpp v86, v176, v86 quad_perm:[2,2,2,2] row_mask:0xf bank_mask:0xf// 000000006A00: 06ACACFA FF00AAB0
	v_subrev_f32_dpp v87, v176, v87 quad_perm:[3,3,3,3] row_mask:0xf bank_mask:0xf// 000000006A08: 06AEAEFA FF00FFB0
	v_mfma_f32_16x16x16_bf16 v[186:189], v[128:129], v[164:165], v[186:189]// 000000006A10: D3E100BA 06EB4980
	v_mul_f32_e32 v76, v52, v76                                // 000000006A18: 0A989934
	v_mul_f32_e32 v77, v53, v77                                // 000000006A1C: 0A9A9B35
	v_mul_f32_e32 v78, v54, v78                                // 000000006A20: 0A9C9D36
	v_mul_f32_e32 v79, v55, v79                                // 000000006A24: 0A9E9F37
	v_mul_f32_e32 v80, v56, v80                                // 000000006A28: 0AA0A138
	v_mul_f32_e32 v81, v57, v81                                // 000000006A2C: 0AA2A339
	v_mfma_f32_16x16x16_bf16 v[190:193], v[130:131], v[164:165], v[190:193]// 000000006A30: D3E100BE 06FB4982
	v_mul_f32_e32 v82, v58, v82                                // 000000006A38: 0AA4A53A
	v_mul_f32_e32 v83, v59, v83                                // 000000006A3C: 0AA6A73B
	v_mul_f32_e32 v84, v60, v84                                // 000000006A40: 0AA8A93C
	v_mul_f32_e32 v85, v61, v85                                // 000000006A44: 0AAAAB3D
	v_mul_f32_e32 v86, v62, v86                                // 000000006A48: 0AACAD3E
	v_mul_f32_e32 v87, v63, v87                                // 000000006A4C: 0AAEAF3F
	v_mfma_f32_16x16x16_bf16 v[194:197], v[124:125], v[166:167], v[194:197]// 000000006A50: D3E100C2 070B4D7C
	v_perm_b32 v76, v77, v76, s64                              // 000000006A58: D1ED004C 0102994D
	v_perm_b32 v77, v79, v78, s64                              // 000000006A60: D1ED004D 01029D4F
	v_perm_b32 v78, v81, v80, s64                              // 000000006A68: D1ED004E 0102A151
	v_perm_b32 v79, v83, v82, s64                              // 000000006A70: D1ED004F 0102A553
	v_perm_b32 v80, v85, v84, s64                              // 000000006A78: D1ED0050 0102A955
	v_perm_b32 v81, v87, v86, s64                              // 000000006A80: D1ED0051 0102AD57
	v_mfma_f32_16x16x16_bf16 v[198:201], v[126:127], v[166:167], v[198:201]// 000000006A88: D3E100C6 071B4D7E
	v_mov_b32_dpp v18, v76 quad_perm:[1,0,3,2] row_mask:0xf bank_mask:0xf// 000000006A90: 7E2402FA FF00B14C
	v_perm_b32 v52, v18, v76, v17                              // 000000006A98: D1ED0034 04469912
	v_mov_b32_dpp v18, v77 quad_perm:[1,0,3,2] row_mask:0xf bank_mask:0xf// 000000006AA0: 7E2402FA FF00B14D
	v_perm_b32 v53, v18, v77, v17                              // 000000006AA8: D1ED0035 04469B12
	v_mov_b32_dpp v18, v78 quad_perm:[1,0,3,2] row_mask:0xf bank_mask:0xf// 000000006AB0: 7E2402FA FF00B14E
	v_perm_b32 v54, v18, v78, v17                              // 000000006AB8: D1ED0036 04469D12
	v_mfma_f32_16x16x16_bf16 v[202:205], v[128:129], v[166:167], v[202:205]// 000000006AC0: D3E100CA 072B4D80
	v_mov_b32_dpp v18, v79 quad_perm:[1,0,3,2] row_mask:0xf bank_mask:0xf// 000000006AC8: 7E2402FA FF00B14F
	v_perm_b32 v55, v18, v79, v17                              // 000000006AD0: D1ED0037 04469F12
	v_mov_b32_dpp v18, v80 quad_perm:[1,0,3,2] row_mask:0xf bank_mask:0xf// 000000006AD8: 7E2402FA FF00B150
	v_perm_b32 v56, v18, v80, v17                              // 000000006AE0: D1ED0038 0446A112
	v_mov_b32_dpp v18, v81 quad_perm:[1,0,3,2] row_mask:0xf bank_mask:0xf// 000000006AE8: 7E2402FA FF00B151
	v_perm_b32 v57, v18, v81, v17                              // 000000006AF0: D1ED0039 0446A312
	v_mfma_f32_16x16x16_bf16 v[206:209], v[130:131], v[166:167], v[206:209]// 000000006AF8: D3E100CE 073B4D82
	ds_write_b32 v20, v52 offset:17408                         // 000000006B00: D81A4400 00003414
	ds_write_b32 v20, v53 offset:17952                         // 000000006B08: D81A4620 00003514
	v_mfma_f32_16x16x16_bf16 v[210:213], v[124:125], v[168:169], v[210:213]// 000000006B10: D3E100D2 074B517C
	v_subrev_f32_dpp v88, v177, v88 quad_perm:[0,0,0,0] row_mask:0xf bank_mask:0xf// 000000006B18: 06B0B0FA FF0000B1
	v_subrev_f32_dpp v89, v177, v89 quad_perm:[1,1,1,1] row_mask:0xf bank_mask:0xf// 000000006B20: 06B2B2FA FF0055B1
	v_subrev_f32_dpp v90, v177, v90 quad_perm:[2,2,2,2] row_mask:0xf bank_mask:0xf// 000000006B28: 06B4B4FA FF00AAB1
	v_subrev_f32_dpp v91, v177, v91 quad_perm:[3,3,3,3] row_mask:0xf bank_mask:0xf// 000000006B30: 06B6B6FA FF00FFB1
	v_subrev_f32_dpp v92, v177, v92 quad_perm:[0,0,0,0] row_mask:0xf bank_mask:0xf// 000000006B38: 06B8B8FA FF0000B1
	v_subrev_f32_dpp v93, v177, v93 quad_perm:[1,1,1,1] row_mask:0xf bank_mask:0xf// 000000006B40: 06BABAFA FF0055B1
	v_mfma_f32_16x16x16_bf16 v[214:217], v[126:127], v[168:169], v[214:217]// 000000006B48: D3E100D6 075B517E
	ds_write_b32 v20, v54 offset:19712                         // 000000006B50: D81A4D00 00003614
	ds_write_b32 v20, v55 offset:20256                         // 000000006B58: D81A4F20 00003714
	v_mfma_f32_16x16x16_bf16 v[218:221], v[128:129], v[168:169], v[218:221]// 000000006B60: D3E100DA 076B5180
	v_subrev_f32_dpp v94, v177, v94 quad_perm:[2,2,2,2] row_mask:0xf bank_mask:0xf// 000000006B68: 06BCBCFA FF00AAB1
	v_subrev_f32_dpp v95, v177, v95 quad_perm:[3,3,3,3] row_mask:0xf bank_mask:0xf// 000000006B70: 06BEBEFA FF00FFB1
	v_subrev_f32_dpp v96, v177, v96 quad_perm:[0,0,0,0] row_mask:0xf bank_mask:0xf// 000000006B78: 06C0C0FA FF0000B1
	v_subrev_f32_dpp v97, v177, v97 quad_perm:[1,1,1,1] row_mask:0xf bank_mask:0xf// 000000006B80: 06C2C2FA FF0055B1
	v_subrev_f32_dpp v98, v177, v98 quad_perm:[2,2,2,2] row_mask:0xf bank_mask:0xf// 000000006B88: 06C4C4FA FF00AAB1
	v_subrev_f32_dpp v99, v177, v99 quad_perm:[3,3,3,3] row_mask:0xf bank_mask:0xf// 000000006B90: 06C6C6FA FF00FFB1
	v_mfma_f32_16x16x16_bf16 v[222:225], v[130:131], v[168:169], v[222:225]// 000000006B98: D3E100DE 077B5182
	ds_write_b32 v20, v56 offset:22016                         // 000000006BA0: D81A5600 00003814
	ds_write_b32 v20, v57 offset:22560                         // 000000006BA8: D81A5820 00003914
	v_mfma_f32_16x16x16_bf16 v[178:181], v[132:133], v[170:171], v[178:181]// 000000006BB0: D3E100B2 06CB5584
	v_mul_f32_e32 v88, v64, v88                                // 000000006BB8: 0AB0B140
	v_mul_f32_e32 v89, v65, v89                                // 000000006BBC: 0AB2B341
	v_mul_f32_e32 v90, v66, v90                                // 000000006BC0: 0AB4B542
	v_mul_f32_e32 v91, v67, v91                                // 000000006BC4: 0AB6B743
	v_mul_f32_e32 v92, v68, v92                                // 000000006BC8: 0AB8B944
	v_mul_f32_e32 v93, v69, v93                                // 000000006BCC: 0ABABB45
	v_mfma_f32_16x16x16_bf16 v[182:185], v[134:135], v[170:171], v[182:185]// 000000006BD0: D3E100B6 06DB5586
	v_mul_f32_e32 v94, v70, v94                                // 000000006BD8: 0ABCBD46
	v_mul_f32_e32 v95, v71, v95                                // 000000006BDC: 0ABEBF47
	v_mul_f32_e32 v96, v72, v96                                // 000000006BE0: 0AC0C148
	v_mul_f32_e32 v97, v73, v97                                // 000000006BE4: 0AC2C349
	v_mul_f32_e32 v98, v74, v98                                // 000000006BE8: 0AC4C54A
	v_mul_f32_e32 v99, v75, v99                                // 000000006BEC: 0AC6C74B
	v_mfma_f32_16x16x16_bf16 v[186:189], v[136:137], v[170:171], v[186:189]// 000000006BF0: D3E100BA 06EB5588
	v_perm_b32 v82, v89, v88, s64                              // 000000006BF8: D1ED0052 0102B159
	v_perm_b32 v83, v91, v90, s64                              // 000000006C00: D1ED0053 0102B55B
	v_perm_b32 v84, v93, v92, s64                              // 000000006C08: D1ED0054 0102B95D
	v_perm_b32 v85, v95, v94, s64                              // 000000006C10: D1ED0055 0102BD5F
	v_perm_b32 v86, v97, v96, s64                              // 000000006C18: D1ED0056 0102C161
	v_perm_b32 v87, v99, v98, s64                              // 000000006C20: D1ED0057 0102C563
	v_mfma_f32_16x16x16_bf16 v[190:193], v[138:139], v[170:171], v[190:193]// 000000006C28: D3E100BE 06FB558A
	v_mov_b32_dpp v18, v82 quad_perm:[1,0,3,2] row_mask:0xf bank_mask:0xf// 000000006C30: 7E2402FA FF00B152
	v_perm_b32 v58, v18, v82, v17                              // 000000006C38: D1ED003A 0446A512
	v_mov_b32_dpp v18, v83 quad_perm:[1,0,3,2] row_mask:0xf bank_mask:0xf// 000000006C40: 7E2402FA FF00B153
	v_perm_b32 v59, v18, v83, v17                              // 000000006C48: D1ED003B 0446A712
	v_mov_b32_dpp v18, v84 quad_perm:[1,0,3,2] row_mask:0xf bank_mask:0xf// 000000006C50: 7E2402FA FF00B154
	v_perm_b32 v60, v18, v84, v17                              // 000000006C58: D1ED003C 0446A912
	v_mfma_f32_16x16x16_bf16 v[194:197], v[132:133], v[172:173], v[194:197]// 000000006C60: D3E100C2 070B5984
	v_mov_b32_dpp v18, v85 quad_perm:[1,0,3,2] row_mask:0xf bank_mask:0xf// 000000006C68: 7E2402FA FF00B155
	v_perm_b32 v61, v18, v85, v17                              // 000000006C70: D1ED003D 0446AB12
	v_mov_b32_dpp v18, v86 quad_perm:[1,0,3,2] row_mask:0xf bank_mask:0xf// 000000006C78: 7E2402FA FF00B156
	v_perm_b32 v62, v18, v86, v17                              // 000000006C80: D1ED003E 0446AD12
	v_mov_b32_dpp v18, v87 quad_perm:[1,0,3,2] row_mask:0xf bank_mask:0xf// 000000006C88: 7E2402FA FF00B157
	v_perm_b32 v63, v18, v87, v17                              // 000000006C90: D1ED003F 0446AF12
	v_mfma_f32_16x16x16_bf16 v[198:201], v[134:135], v[172:173], v[198:201]// 000000006C98: D3E100C6 071B5986
	ds_write_b32 v20, v58 offset:24320                         // 000000006CA0: D81A5F00 00003A14
	ds_write_b32 v20, v59 offset:24864                         // 000000006CA8: D81A6120 00003B14
	v_mfma_f32_16x16x16_bf16 v[202:205], v[136:137], v[172:173], v[202:205]// 000000006CB0: D3E100CA 072B5988
	v_mfma_f32_16x16x16_bf16 v[206:209], v[138:139], v[172:173], v[206:209]// 000000006CB8: D3E100CE 073B598A
	ds_write_b32 v20, v60 offset:26624                         // 000000006CC0: D81A6800 00003C14
	ds_write_b32 v20, v61 offset:27168                         // 000000006CC8: D81A6A20 00003D14
	ds_write_b32 v20, v62 offset:28928                         // 000000006CD0: D81A7100 00003E14
	ds_write_b32 v20, v63 offset:29472                         // 000000006CD8: D81A7320 00003F14
	v_mfma_f32_16x16x16_bf16 v[210:213], v[132:133], v[174:175], v[210:213]// 000000006CE0: D3E100D2 074B5D84
	v_mfma_f32_16x16x16_bf16 v[214:217], v[134:135], v[174:175], v[214:217]// 000000006CE8: D3E100D6 075B5D86
	ds_write_b32 v15, v100 offset:4352                         // 000000006CF0: D81A1100 0000640F
	ds_write_b32 v15, v101 offset:5408                         // 000000006CF8: D81A1520 0000650F
	v_mfma_f32_16x16x16_bf16 v[218:221], v[136:137], v[174:175], v[218:221]// 000000006D00: D3E100DA 076B5D88
	s_nop 0                                                    // 000000006D08: BF800000
	s_nop 0                                                    // 000000006D0C: BF800000
	s_nop 0                                                    // 000000006D10: BF800000
	v_mfma_f32_16x16x16_bf16 v[222:225], v[138:139], v[174:175], v[222:225]// 000000006D14: D3E100DE 077B5D8A
	ds_write_b32 v15, v102 offset:6528                         // 000000006D1C: D81A1980 0000660F
	ds_write_b32 v15, v103 offset:7584                         // 000000006D24: D81A1DA0 0000670F
	s_barrier                                                  // 000000006D2C: BF8A0000
	v_mfma_f32_16x16x16_bf16 a[112:115], a[96:97], v[76:77], a[112:115]// 000000006D30: D3E18070 0DC29960
	buffer_atomic_add_f32 v156, v6, s[32:35], 0 idxen          // 000000006D38: E1342000 80089C06
	v_mfma_f32_16x16x16_bf16 a[116:119], a[98:99], v[76:77], a[116:119]// 000000006D40: D3E18074 0DD29962
	ds_read_b32 v140, v23 offset:39424                         // 000000006D48: D86C9A00 8C000017
	ds_read_b32 v144, v23 offset:39488                         // 000000006D50: D86C9A40 90000017
	ds_read_b32 v176, v23 offset:39680                         // 000000006D58: D86C9B00 B0000017
	ds_read_b32 v177, v23 offset:39744                         // 000000006D60: D86C9B40 B1000017
	v_mfma_f32_16x16x16_bf16 a[120:123], a[100:101], v[76:77], a[120:123]// 000000006D68: D3E18078 0DE29964
	s_waitcnt lgkmcnt(8)                                       // 000000006D70: BF8CC87F
	s_barrier                                                  // 000000006D74: BF8A0000
	v_mfma_f32_16x16x16_bf16 a[124:127], a[102:103], v[76:77], a[124:127]// 000000006D78: D3E1807C 0DF29966
	ds_read_b128 v[52:55], v19 offset:17408                    // 000000006D80: D9FE4400 34000013
	v_mfma_f32_16x16x16_bf16 a[128:131], a[96:97], v[78:79], a[128:131]// 000000006D88: D3E18080 0E029D60
	v_mfma_f32_16x16x16_bf16 a[132:135], a[98:99], v[78:79], a[132:135]// 000000006D90: D3E18084 0E129D62
	ds_read_b128 v[56:59], v19 offset:18560                    // 000000006D98: D9FE4880 38000013
	v_mfma_f32_16x16x16_bf16 a[136:139], a[100:101], v[78:79], a[136:139]// 000000006DA0: D3E18088 0E229D64
	buffer_atomic_add_f32 v157, v7, s[32:35], 0 idxen          // 000000006DA8: E1342000 80089D07
	v_mfma_f32_16x16x16_bf16 a[140:143], a[102:103], v[78:79], a[140:143]// 000000006DB0: D3E1808C 0E329D66
	ds_read_b128 v[60:63], v19 offset:19712                    // 000000006DB8: D9FE4D00 3C000013
	v_mfma_f32_16x16x16_bf16 a[144:147], a[96:97], v[80:81], a[144:147]// 000000006DC0: D3E18090 0E42A160
	v_mfma_f32_16x16x16_bf16 a[148:151], a[98:99], v[80:81], a[148:151]// 000000006DC8: D3E18094 0E52A162
	ds_read_b128 v[64:67], v19 offset:20864                    // 000000006DD0: D9FE5180 40000013
	v_mfma_f32_16x16x16_bf16 a[152:155], a[100:101], v[80:81], a[152:155]// 000000006DD8: D3E18098 0E62A164
	v_mfma_f32_16x16x16_bf16 a[156:159], a[102:103], v[80:81], a[156:159]// 000000006DE0: D3E1809C 0E72A166
	ds_read_b128 v[68:71], v19 offset:22016                    // 000000006DE8: D9FE5600 44000013
	v_mfma_f32_16x16x16_bf16 a[112:115], a[104:105], v[82:83], a[112:115]// 000000006DF0: D3E18070 0DC2A568
	buffer_atomic_add_f32 v158, v6, s[32:35], 0 idxen offset:128// 000000006DF8: E1342080 80089E06
	v_mfma_f32_16x16x16_bf16 a[116:119], a[106:107], v[82:83], a[116:119]// 000000006E00: D3E18074 0DD2A56A
	ds_read_b128 v[72:75], v19 offset:23168                    // 000000006E08: D9FE5A80 48000013
	v_mfma_f32_16x16x16_bf16 a[120:123], a[108:109], v[82:83], a[120:123]// 000000006E10: D3E18078 0DE2A56C
	v_mfma_f32_16x16x16_bf16 a[124:127], a[110:111], v[82:83], a[124:127]// 000000006E18: D3E1807C 0DF2A56E
	ds_write_b32 v15, v104 offset:13056                        // 000000006E20: D81A3300 0000680F
	v_mfma_f32_16x16x16_bf16 a[128:131], a[104:105], v[84:85], a[128:131]// 000000006E28: D3E18080 0E02A968
	v_mfma_f32_16x16x16_bf16 a[132:135], a[106:107], v[84:85], a[132:135]// 000000006E30: D3E18084 0E12A96A
	ds_write_b32 v15, v105 offset:14112                        // 000000006E38: D81A3720 0000690F
	v_mfma_f32_16x16x16_bf16 a[136:139], a[108:109], v[84:85], a[136:139]// 000000006E40: D3E18088 0E22A96C
	buffer_atomic_add_f32 v159, v7, s[32:35], 0 idxen offset:128// 000000006E48: E1342080 80089F07
	v_mfma_f32_16x16x16_bf16 a[140:143], a[110:111], v[84:85], a[140:143]// 000000006E50: D3E1808C 0E32A96E
	ds_write_b32 v15, v106 offset:15232                        // 000000006E58: D81A3B80 00006A0F
	v_mfma_f32_16x16x16_bf16 a[144:147], a[104:105], v[86:87], a[144:147]// 000000006E60: D3E18090 0E42AD68
	v_mfma_f32_16x16x16_bf16 a[148:151], a[106:107], v[86:87], a[148:151]// 000000006E68: D3E18094 0E52AD6A
	ds_write_b32 v15, v107 offset:16288                        // 000000006E70: D81A3FA0 00006B0F
	v_mfma_f32_16x16x16_bf16 a[152:155], a[108:109], v[86:87], a[152:155]// 000000006E78: D3E18098 0E62AD6C
	v_mfma_f32_16x16x16_bf16 a[156:159], a[110:111], v[86:87], a[156:159]// 000000006E80: D3E1809C 0E72AD6E
	s_waitcnt vmcnt(8) lgkmcnt(4)                              // 000000006E88: BF8C0478
	s_barrier                                                  // 000000006E8C: BF8A0000
	v_mfma_f32_16x16x16_bf16 v[148:151], v[52:53], a[24:25], 0 // 000000006E90: D3E10094 12023134
	v_mul_f32_e32 v140, s48, v140                              // 000000006E98: 0B191830
	v_mul_f32_e32 v144, s48, v144                              // 000000006E9C: 0B212030
	s_nop 0                                                    // 000000006EA0: BF800000
	v_mfma_f32_16x16x16_bf16 v[148:151], v[54:55], a[28:29], v[148:151]// 000000006EA4: D3E10094 16523936
	ds_read_b128 a[96:99], v12                                 // 000000006EAC: DBFE0000 6000000C
	buffer_load_dword v36, v1, s[8:11], 0 idxen                // 000000006EB4: E0502000 80022401
	v_mfma_f32_16x16x16_bf16 v[148:151], v[56:57], a[32:33], v[148:151]// 000000006EBC: D3E10094 16524138
	v_mfma_f32_16x16x16_bf16 v[148:151], v[58:59], a[36:37], v[148:151]// 000000006EC4: D3E10094 1652493A
	ds_read_b128 a[100:103], v12 offset:512                    // 000000006ECC: DBFE0200 6400000C
	buffer_load_dword v37, v2, s[8:11], 0 idxen                // 000000006ED4: E0502000 80022502
	v_mfma_f32_16x16x16_bf16 v[148:151], v[60:61], a[40:41], v[148:151]// 000000006EDC: D3E10094 1652513C
	v_perm_b32 v100, v41, v40, s63                             // 000000006EE4: D1ED0064 00FE5129
	v_perm_b32 v101, v41, v40, s64                             // 000000006EEC: D1ED0065 01025129
	v_mfma_f32_16x16x16_bf16 v[148:151], v[62:63], a[44:45], v[148:151]// 000000006EF4: D3E10094 1652593E
	ds_read_b128 a[104:107], v12 offset:2176                   // 000000006EFC: DBFE0880 6800000C
	buffer_load_dword v38, v3, s[8:11], 0 idxen                // 000000006F04: E0502000 80022603
	v_mfma_f32_16x16x16_bf16 v[148:151], v[64:65], a[48:49], v[148:151]// 000000006F0C: D3E10094 16526140
	v_perm_b32 v102, v43, v42, s63                             // 000000006F14: D1ED0066 00FE552B
	v_perm_b32 v103, v43, v42, s64                             // 000000006F1C: D1ED0067 0102552B
	v_mfma_f32_16x16x16_bf16 v[148:151], v[66:67], a[52:53], v[148:151]// 000000006F24: D3E10094 16526942
	ds_read_b128 a[108:111], v12 offset:2688                   // 000000006F2C: DBFE0A80 6C00000C
	buffer_load_dword v39, v4, s[8:11], 0 idxen                // 000000006F34: E0502000 80022704
	v_mfma_f32_16x16x16_bf16 v[148:151], v[68:69], a[56:57], v[148:151]// 000000006F3C: D3E10094 16527144
	v_perm_b32 v104, v49, v48, s63                             // 000000006F44: D1ED0068 00FE6131
	v_perm_b32 v105, v49, v48, s64                             // 000000006F4C: D1ED0069 01026131
	v_mfma_f32_16x16x16_bf16 v[148:151], v[70:71], a[60:61], v[148:151]// 000000006F54: D3E10094 16527946
	ds_read_b128 v[108:111], v12 offset:8704                   // 000000006F5C: D9FE2200 6C00000C
	buffer_load_dword v44, v231, s[20:23], 0 idxen             // 000000006F64: E0502000 80052CE7
	v_mfma_f32_16x16x16_bf16 v[148:151], v[72:73], a[64:65], v[148:151]// 000000006F6C: D3E10094 16528148
	v_perm_b32 v106, v51, v50, s63                             // 000000006F74: D1ED006A 00FE6533
	v_perm_b32 v107, v51, v50, s64                             // 000000006F7C: D1ED006B 01026533
	v_mfma_f32_16x16x16_bf16 v[148:151], v[74:75], a[68:69], v[148:151]// 000000006F84: D3E10094 1652894A
	ds_read_b128 v[112:115], v12 offset:9216                   // 000000006F8C: D9FE2400 7000000C
	buffer_load_dword v45, v232, s[20:23], 0 idxen             // 000000006F94: E0502000 80052DE8
	v_mfma_f32_16x16x16_bf16 v[152:155], v[52:53], a[26:27], 0 // 000000006F9C: D3E10098 12023534
	v_mov_b32_dpp v143, v140 quad_perm:[3,3,3,3] row_mask:0xf bank_mask:0xf// 000000006FA4: 7F1E02FA FF00FF8C
	v_mov_b32_dpp v142, v140 quad_perm:[2,2,2,2] row_mask:0xf bank_mask:0xf// 000000006FAC: 7F1C02FA FF00AA8C
	v_mov_b32_dpp v141, v140 quad_perm:[1,1,1,1] row_mask:0xf bank_mask:0xf// 000000006FB4: 7F1A02FA FF00558C
	v_mov_b32_dpp v140, v140 quad_perm:[0,0,0,0] row_mask:0xf bank_mask:0xf// 000000006FBC: 7F1802FA FF00008C
	v_mfma_f32_16x16x16_bf16 v[152:155], v[54:55], a[30:31], v[152:155]// 000000006FC4: D3E10098 16623D36
	ds_read_b128 v[116:119], v12 offset:10880                  // 000000006FCC: D9FE2A80 7400000C
	buffer_load_dword v46, v233, s[20:23], 0 idxen             // 000000006FD4: E0502000 80052EE9
	v_mfma_f32_16x16x16_bf16 v[152:155], v[56:57], a[34:35], v[152:155]// 000000006FDC: D3E10098 16624538
	v_mov_b32_dpp v147, v144 quad_perm:[3,3,3,3] row_mask:0xf bank_mask:0xf// 000000006FE4: 7F2602FA FF00FF90
	v_mov_b32_dpp v146, v144 quad_perm:[2,2,2,2] row_mask:0xf bank_mask:0xf// 000000006FEC: 7F2402FA FF00AA90
	v_mov_b32_dpp v145, v144 quad_perm:[1,1,1,1] row_mask:0xf bank_mask:0xf// 000000006FF4: 7F2202FA FF005590
	v_mov_b32_dpp v144, v144 quad_perm:[0,0,0,0] row_mask:0xf bank_mask:0xf// 000000006FFC: 7F2002FA FF000090
	s_add_u32 s60, 0x80, s59                                   // 000000007004: 803C3BFF 00000080
	v_mfma_f32_16x16x16_bf16 v[152:155], v[58:59], a[38:39], v[152:155]// 00000000700C: D3E10098 16624D3A
	ds_read_b128 v[120:123], v12 offset:11392                  // 000000007014: D9FE2C80 7800000C
	buffer_load_dword v47, v234, s[20:23], 0 idxen             // 00000000701C: E0502000 80052FEA
	v_mfma_f32_16x16x16_bf16 v[152:155], v[60:61], a[42:43], v[152:155]// 000000007024: D3E10098 1662553C
	s_cmp_lt_u32 s60, s58                                      // 00000000702C: BF0A3A3C
	s_cselect_b32 s68, s68, 0                                  // 000000007030: 85448044
	s_cselect_b32 s81, s81, 0                                  // 000000007034: 85518051
	;; [unrolled: 1-line block ×3, first 2 shown]
	v_mfma_f32_16x16x16_bf16 v[152:155], v[62:63], a[46:47], v[152:155]// 00000000703C: D3E10098 16625D3E
	buffer_load_dword v11, s[24:27], 0 idxen lds               // 000000007044: E0512000 8006000B
	v_mfma_f32_16x16x16_bf16 v[152:155], v[64:65], a[50:51], v[152:155]// 00000000704C: D3E10098 16626540
	v_add_u32_e32 v1, s68, v1                                  // 000000007054: 68020244
	v_add_u32_e32 v2, s68, v2                                  // 000000007058: 68040444
	v_add_u32_e32 v3, s68, v3                                  // 00000000705C: 68060644
	v_add_u32_e32 v4, s68, v4                                  // 000000007060: 68080844
	v_mfma_f32_16x16x16_bf16 v[152:155], v[66:67], a[54:55], v[152:155]// 000000007064: D3E10098 16626D42
	v_add_u32_e32 v231, s81, v231                              // 00000000706C: 69CFCE51
	v_add_u32_e32 v232, s81, v232                              // 000000007070: 69D1D051
	v_add_u32_e32 v233, s81, v233                              // 000000007074: 69D3D251
	v_add_u32_e32 v234, s81, v234                              // 000000007078: 69D5D451
	v_mfma_f32_16x16x16_bf16 v[152:155], v[68:69], a[58:59], v[152:155]// 00000000707C: D3E10098 16627544
	s_mov_b32 m0, s77                                          // 000000007084: BEFC004D
	v_add_u32_e32 v11, s69, v11                                // 000000007088: 68161645
	v_mfma_f32_16x16x16_bf16 v[152:155], v[70:71], a[62:63], v[152:155]// 00000000708C: D3E10098 16627D46
	s_cmp_ge_u32 s59, 32                                       // 000000007094: BF09A03B
	s_cselect_b32 s66, s67, s66                                // 000000007098: 85424243
	v_mfma_f32_16x16x16_bf16 v[152:155], v[72:73], a[66:67], v[152:155]// 00000000709C: D3E10098 16628548
	s_addk_i32 s59, 0x20                                       // 0000000070A4: B73B0020
	s_nop 0                                                    // 0000000070A8: BF800000
	s_cmp_lt_i32 s59, s58                                      // 0000000070AC: BF043A3B
	v_mfma_f32_16x16x16_bf16 v[152:155], v[74:75], a[70:71], v[152:155]// 0000000070B0: D3E10098 16628D4A
	s_cbranch_scc0 label_0CC2                                  // 0000000070B8: BF840001
	s_branch label_062D                                        // 0000000070BC: BF82F97D

00000000000070c0 <label_0CC2>:
	s_nop 0                                                    // 0000000070C0: BF800000
	s_nop 0                                                    // 0000000070C4: BF800000
	s_branch label_135A                                        // 0000000070C8: BF820683

00000000000070cc <label_0CC5>:
	s_waitcnt lgkmcnt(4)                                       // 0000000070CC: BF8CC47F
	s_barrier                                                  // 0000000070D0: BF8A0000
	v_mfma_f32_16x16x16_bf16 v[52:55], a[96:97], a[0:1], 0     // 0000000070D4: D3E10034 1A020160
	v_mul_f32_e32 v148, s47, v148                              // 0000000070DC: 0B29282F
	v_mul_f32_e32 v149, s47, v149                              // 0000000070E0: 0B2B2A2F
	v_mfma_f32_16x16x16_bf16 v[52:55], a[98:99], a[2:3], v[52:55]// 0000000070E4: D3E10034 1CD20562
	ds_write_b32 v13, v48 offset:8704                          // 0000000070EC: D81A2200 0000300D
	ds_write_b32 v13, v49 offset:9760                          // 0000000070F4: D81A2620 0000310D
	v_mfma_f32_16x16x16_bf16 v[52:55], a[100:101], a[4:5], v[52:55]// 0000000070FC: D3E10034 1CD20964
	v_mul_f32_e32 v150, s47, v150                              // 000000007104: 0B2D2C2F
	v_mul_f32_e32 v151, s47, v151                              // 000000007108: 0B2F2E2F
	v_mfma_f32_16x16x16_bf16 v[52:55], a[102:103], a[6:7], v[52:55]// 00000000710C: D3E10034 1CD20D66
	ds_write_b32 v13, v50 offset:10880                         // 000000007114: D81A2A80 0000320D
	ds_write_b32 v13, v51 offset:11936                         // 00000000711C: D81A2EA0 0000330D
	v_mfma_f32_16x16x16_bf16 v[56:59], a[96:97], a[8:9], 0     // 000000007124: D3E10038 1A021160
	v_mul_f32_e32 v152, s47, v152                              // 00000000712C: 0B31302F
	v_mul_f32_e32 v153, s47, v153                              // 000000007130: 0B33322F
	v_mfma_f32_16x16x16_bf16 v[56:59], a[98:99], a[10:11], v[56:59]// 000000007134: D3E10038 1CE21562
	ds_write_b64 v22, v[148:149] offset:31232                  // 00000000713C: D89A7A00 00009416
	v_mfma_f32_16x16x16_bf16 v[56:59], a[100:101], a[12:13], v[56:59]// 000000007144: D3E10038 1CE21964
	v_mul_f32_e32 v154, s47, v154                              // 00000000714C: 0B35342F
	v_mul_f32_e32 v155, s47, v155                              // 000000007150: 0B37362F
	v_mfma_f32_16x16x16_bf16 v[56:59], a[102:103], a[14:15], v[56:59]// 000000007154: D3E10038 1CE21D66
	ds_write_b64 v22, v[150:151] offset:31744                  // 00000000715C: D89A7C00 00009616
	v_mfma_f32_16x16x16_bf16 v[60:63], a[96:97], a[16:17], 0   // 000000007164: D3E1003C 1A022160
	buffer_atomic_add_f32 v160, v8, s[32:35], 0 idxen          // 00000000716C: E1342000 8008A008
	v_mfma_f32_16x16x16_bf16 v[60:63], a[98:99], a[18:19], v[60:63]// 000000007174: D3E1003C 1CF22562
	ds_write_b64 v22, v[152:153] offset:32256                  // 00000000717C: D89A7E00 00009816
	v_mfma_f32_16x16x16_bf16 v[60:63], a[100:101], a[20:21], v[60:63]// 000000007184: D3E1003C 1CF22964
	v_mfma_f32_16x16x16_bf16 v[60:63], a[102:103], a[22:23], v[60:63]// 00000000718C: D3E1003C 1CF22D66
	ds_write_b64 v22, v[154:155] offset:32768                  // 000000007194: D89A8000 00009A16
	v_mfma_f32_16x16x16_bf16 v[64:67], a[104:105], a[0:1], 0   // 00000000719C: D3E10040 1A020168
	buffer_atomic_add_f32 v161, v9, s[32:35], 0 idxen          // 0000000071A4: E1342000 8008A109
	v_mfma_f32_16x16x16_bf16 v[64:67], a[106:107], a[2:3], v[64:67]// 0000000071AC: D3E10040 1D02056A
	ds_read_b128 v[124:127], v14 offset:13056                  // 0000000071B4: D9FE3300 7C00000E
	ds_write_b32 v13, v40                                      // 0000000071BC: D81A0000 0000280D
	v_mfma_f32_16x16x16_bf16 v[64:67], a[108:109], a[4:5], v[64:67]// 0000000071C4: D3E10040 1D02096C
	v_mfma_f32_16x16x16_bf16 v[64:67], a[110:111], a[6:7], v[64:67]// 0000000071CC: D3E10040 1D020D6E
	v_mfma_f32_16x16x16_bf16 v[68:71], a[104:105], a[8:9], 0   // 0000000071D4: D3E10044 1A021168
	ds_read_b128 v[128:131], v14 offset:13568                  // 0000000071DC: D9FE3500 8000000E
	ds_write_b32 v13, v41 offset:1056                          // 0000000071E4: D81A0420 0000290D
	v_mfma_f32_16x16x16_bf16 v[68:71], a[106:107], a[10:11], v[68:71]// 0000000071EC: D3E10044 1D12156A
	buffer_atomic_add_f32 v162, v8, s[32:35], 0 idxen offset:128// 0000000071F4: E1342080 8008A208
	v_mfma_f32_16x16x16_bf16 v[68:71], a[108:109], a[12:13], v[68:71]// 0000000071FC: D3E10044 1D12196C
	v_mfma_f32_16x16x16_bf16 v[68:71], a[110:111], a[14:15], v[68:71]// 000000007204: D3E10044 1D121D6E
	ds_read_b128 v[132:135], v14 offset:15232                  // 00000000720C: D9FE3B80 8400000E
	ds_write_b32 v13, v42 offset:2176                          // 000000007214: D81A0880 00002A0D
	v_mfma_f32_16x16x16_bf16 v[72:75], a[104:105], a[16:17], 0 // 00000000721C: D3E10048 1A022168
	v_mfma_f32_16x16x16_bf16 v[72:75], a[106:107], a[18:19], v[72:75]// 000000007224: D3E10048 1D22256A
	buffer_atomic_add_f32 v163, v9, s[32:35], 0 idxen offset:128// 00000000722C: E1342080 8008A309
	v_mfma_f32_16x16x16_bf16 v[72:75], a[108:109], a[20:21], v[72:75]// 000000007234: D3E10048 1D22296C
	ds_read_b128 v[136:139], v14 offset:15744                  // 00000000723C: D9FE3D80 8800000E
	ds_write_b32 v13, v43 offset:3232                          // 000000007244: D81A0CA0 00002B0D
	v_mfma_f32_16x16x16_bf16 v[72:75], a[110:111], a[22:23], v[72:75]// 00000000724C: D3E10048 1D222D6E
	s_cmp_lt_i32 s83, 0xc0                                     // 000000007254: BF04FF53 000000C0
	s_cbranch_scc0 label_0DA0                                  // 00000000725C: BF84006D
	s_cmp_le_i32 s83, 64                                       // 000000007260: BF05C053
	s_cbranch_scc1 label_0D33                                  // 000000007264: BF850007
	s_cmp_le_i32 s83, 0x80                                     // 000000007268: BF05FF53 00000080
	s_cbranch_scc1 label_0D57                                  // 000000007270: BF85001F
	s_cmp_lt_i32 s83, 0xc0                                     // 000000007274: BF04FF53 000000C0
	s_cbranch_scc1 label_0D7B                                  // 00000000727C: BF850040
	s_branch label_0DA0                                        // 000000007280: BF820064

0000000000007284 <label_0D33>:
	s_mov_b32 s60, 0                                           // 000000007284: BEBC0080
	v_and_b32_e32 v32, 15, v0                                  // 000000007288: 2640008F
	v_add_u32_e64 v32, v32, s60                                // 00000000728C: D1340020 00007920
	v_mul_i32_i24_e64 v33, s46, 16                             // 000000007294: D1060021 0001202E
	v_add_u32_e32 v32, v32, v33                                // 00000000729C: 68404320
	v_cmp_lt_u32_e64 s[60:61], v32, s83                        // 0000000072A0: D0C9003C 0000A720
	s_nop 1                                                    // 0000000072A8: BF800001
	v_cndmask_b32_e64 v52, v230, v52, s[60:61]                 // 0000000072AC: D1000034 00F269E6
	v_cndmask_b32_e64 v64, v230, v64, s[60:61]                 // 0000000072B4: D1000040 00F281E6
	v_cndmask_b32_e64 v53, v230, v53, s[60:61]                 // 0000000072BC: D1000035 00F26BE6
	v_cndmask_b32_e64 v65, v230, v65, s[60:61]                 // 0000000072C4: D1000041 00F283E6
	v_cndmask_b32_e64 v54, v230, v54, s[60:61]                 // 0000000072CC: D1000036 00F26DE6
	v_cndmask_b32_e64 v66, v230, v66, s[60:61]                 // 0000000072D4: D1000042 00F285E6
	v_cndmask_b32_e64 v55, v230, v55, s[60:61]                 // 0000000072DC: D1000037 00F26FE6
	v_cndmask_b32_e64 v67, v230, v67, s[60:61]                 // 0000000072E4: D1000043 00F287E6
	s_branch label_0D72                                        // 0000000072EC: BF82001B

00000000000072f0 <label_0D57>:
	s_mov_b32 s60, 64                                          // 0000000072F0: BEBC00C0
	v_and_b32_e32 v32, 15, v0                                  // 0000000072F4: 2640008F
	v_add_u32_e64 v32, v32, s60                                // 0000000072F8: D1340020 00007920
	v_mul_i32_i24_e64 v33, s46, 16                             // 000000007300: D1060021 0001202E
	v_add_u32_e32 v32, v32, v33                                // 000000007308: 68404320
	v_cmp_lt_u32_e64 s[60:61], v32, s83                        // 00000000730C: D0C9003C 0000A720
	s_nop 1                                                    // 000000007314: BF800001
	v_cndmask_b32_e64 v56, v230, v56, s[60:61]                 // 000000007318: D1000038 00F271E6
	v_cndmask_b32_e64 v68, v230, v68, s[60:61]                 // 000000007320: D1000044 00F289E6
	v_cndmask_b32_e64 v57, v230, v57, s[60:61]                 // 000000007328: D1000039 00F273E6
	v_cndmask_b32_e64 v69, v230, v69, s[60:61]                 // 000000007330: D1000045 00F28BE6
	v_cndmask_b32_e64 v58, v230, v58, s[60:61]                 // 000000007338: D100003A 00F275E6
	v_cndmask_b32_e64 v70, v230, v70, s[60:61]                 // 000000007340: D1000046 00F28DE6
	v_cndmask_b32_e64 v59, v230, v59, s[60:61]                 // 000000007348: D100003B 00F277E6
	v_cndmask_b32_e64 v71, v230, v71, s[60:61]                 // 000000007350: D1000047 00F28FE6
	s_branch label_0D97                                        // 000000007358: BF820025

000000000000735c <label_0D72>:
	v_mov_b32_e32 v56, v230                                    // 00000000735C: 7E7003E6
	v_mov_b32_e32 v68, v230                                    // 000000007360: 7E8803E6
	v_mov_b32_e32 v57, v230                                    // 000000007364: 7E7203E6
	v_mov_b32_e32 v69, v230                                    // 000000007368: 7E8A03E6
	v_mov_b32_e32 v58, v230                                    // 00000000736C: 7E7403E6
	v_mov_b32_e32 v70, v230                                    // 000000007370: 7E8C03E6
	v_mov_b32_e32 v59, v230                                    // 000000007374: 7E7603E6
	v_mov_b32_e32 v71, v230                                    // 000000007378: 7E8E03E6
	s_branch label_0D97                                        // 00000000737C: BF82001C

0000000000007380 <label_0D7B>:
	s_mov_b32 s60, 0x80                                        // 000000007380: BEBC00FF 00000080
	v_and_b32_e32 v32, 15, v0                                  // 000000007388: 2640008F
	v_add_u32_e64 v32, v32, s60                                // 00000000738C: D1340020 00007920
	v_mul_i32_i24_e64 v33, s46, 16                             // 000000007394: D1060021 0001202E
	v_add_u32_e32 v32, v32, v33                                // 00000000739C: 68404320
	v_cmp_lt_u32_e64 s[60:61], v32, s83                        // 0000000073A0: D0C9003C 0000A720
	s_nop 1                                                    // 0000000073A8: BF800001
	v_cndmask_b32_e64 v60, v230, v60, s[60:61]                 // 0000000073AC: D100003C 00F279E6
	v_cndmask_b32_e64 v72, v230, v72, s[60:61]                 // 0000000073B4: D1000048 00F291E6
	v_cndmask_b32_e64 v61, v230, v61, s[60:61]                 // 0000000073BC: D100003D 00F27BE6
	v_cndmask_b32_e64 v73, v230, v73, s[60:61]                 // 0000000073C4: D1000049 00F293E6
	v_cndmask_b32_e64 v62, v230, v62, s[60:61]                 // 0000000073CC: D100003E 00F27DE6
	v_cndmask_b32_e64 v74, v230, v74, s[60:61]                 // 0000000073D4: D100004A 00F295E6
	v_cndmask_b32_e64 v63, v230, v63, s[60:61]                 // 0000000073DC: D100003F 00F27FE6
	v_cndmask_b32_e64 v75, v230, v75, s[60:61]                 // 0000000073E4: D100004B 00F297E6
	s_branch label_0DA0                                        // 0000000073EC: BF820009

00000000000073f0 <label_0D97>:
	v_mov_b32_e32 v60, v230                                    // 0000000073F0: 7E7803E6
	v_mov_b32_e32 v72, v230                                    // 0000000073F4: 7E9003E6
	v_mov_b32_e32 v61, v230                                    // 0000000073F8: 7E7A03E6
	v_mov_b32_e32 v73, v230                                    // 0000000073FC: 7E9203E6
	v_mov_b32_e32 v62, v230                                    // 000000007400: 7E7C03E6
	v_mov_b32_e32 v74, v230                                    // 000000007404: 7E9403E6
	v_mov_b32_e32 v63, v230                                    // 000000007408: 7E7E03E6
	v_mov_b32_e32 v75, v230                                    // 00000000740C: 7E9603E6
	s_branch label_0DA0                                        // 000000007410: BF820000

0000000000007414 <label_0DA0>:
	s_waitcnt lgkmcnt(8)                                       // 000000007414: BF8CC87F
	s_barrier                                                  // 000000007418: BF8A0000
	v_mfma_f32_16x16x16_bf16 v[76:79], v[108:109], a[72:73], 0 // 00000000741C: D3E1004C 1202916C
	v_fma_f32 v52, v52, s57, -v140                             // 000000007424: D1CB0034 86307334
	v_fma_f32 v53, v53, s57, -v141                             // 00000000742C: D1CB0035 86347335
	v_fma_f32 v54, v54, s57, -v142                             // 000000007434: D1CB0036 86387336
	v_fma_f32 v55, v55, s57, -v143                             // 00000000743C: D1CB0037 863C7337
	v_fma_f32 v56, v56, s57, -v140                             // 000000007444: D1CB0038 86307338
	v_fma_f32 v57, v57, s57, -v141                             // 00000000744C: D1CB0039 86347339
	v_mfma_f32_16x16x16_bf16 v[76:79], v[110:111], a[74:75], v[76:79]// 000000007454: D3E1004C 1532956E
	ds_read_b128 a[96:99], v14 offset:4352                     // 00000000745C: DBFE1100 6000000E
	ds_read_b128 a[100:103], v14 offset:4864                   // 000000007464: DBFE1300 6400000E
	v_mfma_f32_16x16x16_bf16 v[76:79], v[112:113], a[76:77], v[76:79]// 00000000746C: D3E1004C 15329970
	v_fma_f32 v58, v58, s57, -v142                             // 000000007474: D1CB003A 8638733A
	v_fma_f32 v59, v59, s57, -v143                             // 00000000747C: D1CB003B 863C733B
	v_fma_f32 v60, v60, s57, -v140                             // 000000007484: D1CB003C 8630733C
	v_fma_f32 v61, v61, s57, -v141                             // 00000000748C: D1CB003D 8634733D
	v_fma_f32 v62, v62, s57, -v142                             // 000000007494: D1CB003E 8638733E
	v_fma_f32 v63, v63, s57, -v143                             // 00000000749C: D1CB003F 863C733F
	v_mfma_f32_16x16x16_bf16 v[76:79], v[114:115], a[78:79], v[76:79]// 0000000074A4: D3E1004C 15329D72
	v_fma_f32 v64, v64, s57, -v144                             // 0000000074AC: D1CB0040 86407340
	v_fma_f32 v65, v65, s57, -v145                             // 0000000074B4: D1CB0041 86447341
	v_fma_f32 v66, v66, s57, -v146                             // 0000000074BC: D1CB0042 86487342
	v_fma_f32 v67, v67, s57, -v147                             // 0000000074C4: D1CB0043 864C7343
	v_fma_f32 v68, v68, s57, -v144                             // 0000000074CC: D1CB0044 86407344
	v_fma_f32 v69, v69, s57, -v145                             // 0000000074D4: D1CB0045 86447345
	v_mfma_f32_16x16x16_bf16 v[80:83], v[108:109], a[80:81], 0 // 0000000074DC: D3E10050 1202A16C
	v_fma_f32 v70, v70, s57, -v146                             // 0000000074E4: D1CB0046 86487346
	v_fma_f32 v71, v71, s57, -v147                             // 0000000074EC: D1CB0047 864C7347
	v_fma_f32 v72, v72, s57, -v144                             // 0000000074F4: D1CB0048 86407348
	v_fma_f32 v73, v73, s57, -v145                             // 0000000074FC: D1CB0049 86447349
	v_fma_f32 v74, v74, s57, -v146                             // 000000007504: D1CB004A 8648734A
	v_fma_f32 v75, v75, s57, -v147                             // 00000000750C: D1CB004B 864C734B
	v_mfma_f32_16x16x16_bf16 v[80:83], v[110:111], a[82:83], v[80:83]// 000000007514: D3E10050 1542A56E
	ds_read_b128 a[104:107], v14 offset:6528                   // 00000000751C: DBFE1980 6800000E
	ds_read_b128 a[108:111], v14 offset:7040                   // 000000007524: DBFE1B80 6C00000E
	v_mfma_f32_16x16x16_bf16 v[80:83], v[112:113], a[84:85], v[80:83]// 00000000752C: D3E10050 1542A970
	v_exp_f32_e32 v52, v52                                     // 000000007534: 7E684134
	v_exp_f32_e32 v53, v53                                     // 000000007538: 7E6A4135
	v_mfma_f32_16x16x16_bf16 v[80:83], v[114:115], a[86:87], v[80:83]// 00000000753C: D3E10050 1542AD72
	v_exp_f32_e32 v54, v54                                     // 000000007544: 7E6C4136
	v_exp_f32_e32 v55, v55                                     // 000000007548: 7E6E4137
	v_mfma_f32_16x16x16_bf16 v[84:87], v[108:109], a[88:89], 0 // 00000000754C: D3E10054 1202B16C
	v_exp_f32_e32 v56, v56                                     // 000000007554: 7E704138
	v_exp_f32_e32 v57, v57                                     // 000000007558: 7E724139
	v_mfma_f32_16x16x16_bf16 v[84:87], v[110:111], a[90:91], v[84:87]// 00000000755C: D3E10054 1552B56E
	ds_read_b64 v[156:157], v21 offset:31232                   // 000000007564: D8EC7A00 9C000015
	ds_read_b64 v[158:159], v21 offset:33280                   // 00000000756C: D8EC8200 9E000015
	v_mfma_f32_16x16x16_bf16 v[84:87], v[112:113], a[92:93], v[84:87]// 000000007574: D3E10054 1552B970
	v_exp_f32_e32 v58, v58                                     // 00000000757C: 7E74413A
	v_exp_f32_e32 v59, v59                                     // 000000007580: 7E76413B
	v_mfma_f32_16x16x16_bf16 v[84:87], v[114:115], a[94:95], v[84:87]// 000000007584: D3E10054 1552BD72
	ds_read_b64 v[160:161], v21 offset:35328                   // 00000000758C: D8EC8A00 A0000015
	ds_read_b64 v[162:163], v21 offset:37376                   // 000000007594: D8EC9200 A2000015
	v_mfma_f32_16x16x16_bf16 v[88:91], v[116:117], a[72:73], 0 // 00000000759C: D3E10058 12029174
	v_exp_f32_e32 v60, v60                                     // 0000000075A4: 7E78413C
	v_exp_f32_e32 v61, v61                                     // 0000000075A8: 7E7A413D
	v_mfma_f32_16x16x16_bf16 v[88:91], v[118:119], a[74:75], v[88:91]// 0000000075AC: D3E10058 15629576
	v_exp_f32_e32 v62, v62                                     // 0000000075B4: 7E7C413E
	v_exp_f32_e32 v63, v63                                     // 0000000075B8: 7E7E413F
	v_mfma_f32_16x16x16_bf16 v[88:91], v[120:121], a[76:77], v[88:91]// 0000000075BC: D3E10058 15629978
	v_exp_f32_e32 v64, v64                                     // 0000000075C4: 7E804140
	v_exp_f32_e32 v65, v65                                     // 0000000075C8: 7E824141
	v_mfma_f32_16x16x16_bf16 v[88:91], v[122:123], a[78:79], v[88:91]// 0000000075CC: D3E10058 15629D7A
	v_exp_f32_e32 v66, v66                                     // 0000000075D4: 7E844142
	v_exp_f32_e32 v67, v67                                     // 0000000075D8: 7E864143
	v_mfma_f32_16x16x16_bf16 v[92:95], v[116:117], a[80:81], 0 // 0000000075DC: D3E1005C 1202A174
	v_exp_f32_e32 v68, v68                                     // 0000000075E4: 7E884144
	v_exp_f32_e32 v69, v69                                     // 0000000075E8: 7E8A4145
	v_mfma_f32_16x16x16_bf16 v[92:95], v[118:119], a[82:83], v[92:95]// 0000000075EC: D3E1005C 1572A576
	v_exp_f32_e32 v70, v70                                     // 0000000075F4: 7E8C4146
	v_exp_f32_e32 v71, v71                                     // 0000000075F8: 7E8E4147
	v_mfma_f32_16x16x16_bf16 v[92:95], v[120:121], a[84:85], v[92:95]// 0000000075FC: D3E1005C 1572A978
	v_exp_f32_e32 v72, v72                                     // 000000007604: 7E904148
	v_exp_f32_e32 v73, v73                                     // 000000007608: 7E924149
	v_mfma_f32_16x16x16_bf16 v[92:95], v[122:123], a[86:87], v[92:95]// 00000000760C: D3E1005C 1572AD7A
	v_exp_f32_e32 v74, v74                                     // 000000007614: 7E94414A
	v_exp_f32_e32 v75, v75                                     // 000000007618: 7E96414B
	v_mfma_f32_16x16x16_bf16 v[96:99], v[116:117], a[88:89], 0 // 00000000761C: D3E10060 1202B174
	v_perm_b32 v164, v53, v52, s64                             // 000000007624: D1ED00A4 01026935
	v_perm_b32 v165, v55, v54, s64                             // 00000000762C: D1ED00A5 01026D37
	v_perm_b32 v166, v57, v56, s64                             // 000000007634: D1ED00A6 01027139
	v_perm_b32 v167, v59, v58, s64                             // 00000000763C: D1ED00A7 0102753B
	v_perm_b32 v168, v61, v60, s64                             // 000000007644: D1ED00A8 0102793D
	v_perm_b32 v169, v63, v62, s64                             // 00000000764C: D1ED00A9 01027D3F
	v_mfma_f32_16x16x16_bf16 v[96:99], v[118:119], a[90:91], v[96:99]// 000000007654: D3E10060 1582B576
	v_perm_b32 v170, v65, v64, s64                             // 00000000765C: D1ED00AA 01028141
	v_perm_b32 v171, v67, v66, s64                             // 000000007664: D1ED00AB 01028543
	v_perm_b32 v172, v69, v68, s64                             // 00000000766C: D1ED00AC 01028945
	v_perm_b32 v173, v71, v70, s64                             // 000000007674: D1ED00AD 01028D47
	v_perm_b32 v174, v73, v72, s64                             // 00000000767C: D1ED00AE 01029149
	v_perm_b32 v175, v75, v74, s64                             // 000000007684: D1ED00AF 0102954B
	v_mfma_f32_16x16x16_bf16 v[96:99], v[120:121], a[92:93], v[96:99]// 00000000768C: D3E10060 1582B978
	v_add_u32_e32 v6, s66, v6                                  // 000000007694: 680C0C42
	v_add_u32_e32 v7, s66, v7                                  // 000000007698: 680E0E42
	v_add_u32_e32 v8, s66, v8                                  // 00000000769C: 68101042
	v_add_u32_e32 v9, s66, v9                                  // 0000000076A0: 68121242
	v_mfma_f32_16x16x16_bf16 v[96:99], v[122:123], a[94:95], v[96:99]// 0000000076A4: D3E10060 1582BD7A
	s_waitcnt lgkmcnt(0)                                       // 0000000076AC: BF8CC07F
	s_barrier                                                  // 0000000076B0: BF8A0000
	v_mfma_f32_16x16x16_bf16 v[178:181], v[124:125], v[164:165], v[178:181]// 0000000076B4: D3E100B2 06CB497C
	v_subrev_f32_dpp v76, v176, v76 quad_perm:[0,0,0,0] row_mask:0xf bank_mask:0xf// 0000000076BC: 069898FA FF0000B0
	v_subrev_f32_dpp v77, v176, v77 quad_perm:[1,1,1,1] row_mask:0xf bank_mask:0xf// 0000000076C4: 069A9AFA FF0055B0
	v_subrev_f32_dpp v78, v176, v78 quad_perm:[2,2,2,2] row_mask:0xf bank_mask:0xf// 0000000076CC: 069C9CFA FF00AAB0
	v_subrev_f32_dpp v79, v176, v79 quad_perm:[3,3,3,3] row_mask:0xf bank_mask:0xf// 0000000076D4: 069E9EFA FF00FFB0
	v_subrev_f32_dpp v80, v176, v80 quad_perm:[0,0,0,0] row_mask:0xf bank_mask:0xf// 0000000076DC: 06A0A0FA FF0000B0
	v_subrev_f32_dpp v81, v176, v81 quad_perm:[1,1,1,1] row_mask:0xf bank_mask:0xf// 0000000076E4: 06A2A2FA FF0055B0
	v_mfma_f32_16x16x16_bf16 v[182:185], v[126:127], v[164:165], v[182:185]// 0000000076EC: D3E100B6 06DB497E
	v_subrev_f32_dpp v82, v176, v82 quad_perm:[2,2,2,2] row_mask:0xf bank_mask:0xf// 0000000076F4: 06A4A4FA FF00AAB0
	v_subrev_f32_dpp v83, v176, v83 quad_perm:[3,3,3,3] row_mask:0xf bank_mask:0xf// 0000000076FC: 06A6A6FA FF00FFB0
	v_subrev_f32_dpp v84, v176, v84 quad_perm:[0,0,0,0] row_mask:0xf bank_mask:0xf// 000000007704: 06A8A8FA FF0000B0
	v_subrev_f32_dpp v85, v176, v85 quad_perm:[1,1,1,1] row_mask:0xf bank_mask:0xf// 00000000770C: 06AAAAFA FF0055B0
	v_subrev_f32_dpp v86, v176, v86 quad_perm:[2,2,2,2] row_mask:0xf bank_mask:0xf// 000000007714: 06ACACFA FF00AAB0
	v_subrev_f32_dpp v87, v176, v87 quad_perm:[3,3,3,3] row_mask:0xf bank_mask:0xf// 00000000771C: 06AEAEFA FF00FFB0
	v_mfma_f32_16x16x16_bf16 v[186:189], v[128:129], v[164:165], v[186:189]// 000000007724: D3E100BA 06EB4980
	v_mul_f32_e32 v76, v52, v76                                // 00000000772C: 0A989934
	v_mul_f32_e32 v77, v53, v77                                // 000000007730: 0A9A9B35
	v_mul_f32_e32 v78, v54, v78                                // 000000007734: 0A9C9D36
	v_mul_f32_e32 v79, v55, v79                                // 000000007738: 0A9E9F37
	v_mul_f32_e32 v80, v56, v80                                // 00000000773C: 0AA0A138
	v_mul_f32_e32 v81, v57, v81                                // 000000007740: 0AA2A339
	v_mfma_f32_16x16x16_bf16 v[190:193], v[130:131], v[164:165], v[190:193]// 000000007744: D3E100BE 06FB4982
	v_mul_f32_e32 v82, v58, v82                                // 00000000774C: 0AA4A53A
	v_mul_f32_e32 v83, v59, v83                                // 000000007750: 0AA6A73B
	v_mul_f32_e32 v84, v60, v84                                // 000000007754: 0AA8A93C
	v_mul_f32_e32 v85, v61, v85                                // 000000007758: 0AAAAB3D
	v_mul_f32_e32 v86, v62, v86                                // 00000000775C: 0AACAD3E
	v_mul_f32_e32 v87, v63, v87                                // 000000007760: 0AAEAF3F
	v_mfma_f32_16x16x16_bf16 v[194:197], v[124:125], v[166:167], v[194:197]// 000000007764: D3E100C2 070B4D7C
	v_perm_b32 v76, v77, v76, s64                              // 00000000776C: D1ED004C 0102994D
	v_perm_b32 v77, v79, v78, s64                              // 000000007774: D1ED004D 01029D4F
	v_perm_b32 v78, v81, v80, s64                              // 00000000777C: D1ED004E 0102A151
	v_perm_b32 v79, v83, v82, s64                              // 000000007784: D1ED004F 0102A553
	v_perm_b32 v80, v85, v84, s64                              // 00000000778C: D1ED0050 0102A955
	v_perm_b32 v81, v87, v86, s64                              // 000000007794: D1ED0051 0102AD57
	v_mfma_f32_16x16x16_bf16 v[198:201], v[126:127], v[166:167], v[198:201]// 00000000779C: D3E100C6 071B4D7E
	v_mov_b32_dpp v18, v76 quad_perm:[1,0,3,2] row_mask:0xf bank_mask:0xf// 0000000077A4: 7E2402FA FF00B14C
	v_perm_b32 v52, v18, v76, v17                              // 0000000077AC: D1ED0034 04469912
	v_mov_b32_dpp v18, v77 quad_perm:[1,0,3,2] row_mask:0xf bank_mask:0xf// 0000000077B4: 7E2402FA FF00B14D
	v_perm_b32 v53, v18, v77, v17                              // 0000000077BC: D1ED0035 04469B12
	v_mov_b32_dpp v18, v78 quad_perm:[1,0,3,2] row_mask:0xf bank_mask:0xf// 0000000077C4: 7E2402FA FF00B14E
	v_perm_b32 v54, v18, v78, v17                              // 0000000077CC: D1ED0036 04469D12
	v_mfma_f32_16x16x16_bf16 v[202:205], v[128:129], v[166:167], v[202:205]// 0000000077D4: D3E100CA 072B4D80
	ds_write_b32 v20, v52 offset:17408                         // 0000000077DC: D81A4400 00003414
	ds_write_b32 v20, v53 offset:17952                         // 0000000077E4: D81A4620 00003514
	v_mfma_f32_16x16x16_bf16 v[206:209], v[130:131], v[166:167], v[206:209]// 0000000077EC: D3E100CE 073B4D82
	v_mov_b32_dpp v18, v79 quad_perm:[1,0,3,2] row_mask:0xf bank_mask:0xf// 0000000077F4: 7E2402FA FF00B14F
	v_perm_b32 v55, v18, v79, v17                              // 0000000077FC: D1ED0037 04469F12
	v_mov_b32_dpp v18, v80 quad_perm:[1,0,3,2] row_mask:0xf bank_mask:0xf// 000000007804: 7E2402FA FF00B150
	v_perm_b32 v56, v18, v80, v17                              // 00000000780C: D1ED0038 0446A112
	v_mov_b32_dpp v18, v81 quad_perm:[1,0,3,2] row_mask:0xf bank_mask:0xf// 000000007814: 7E2402FA FF00B151
	v_perm_b32 v57, v18, v81, v17                              // 00000000781C: D1ED0039 0446A312
	v_mfma_f32_16x16x16_bf16 v[210:213], v[124:125], v[168:169], v[210:213]// 000000007824: D3E100D2 074B517C
	ds_write_b32 v20, v54 offset:19712                         // 00000000782C: D81A4D00 00003614
	ds_write_b32 v20, v55 offset:20256                         // 000000007834: D81A4F20 00003714
	v_mfma_f32_16x16x16_bf16 v[214:217], v[126:127], v[168:169], v[214:217]// 00000000783C: D3E100D6 075B517E
	v_subrev_f32_dpp v88, v177, v88 quad_perm:[0,0,0,0] row_mask:0xf bank_mask:0xf// 000000007844: 06B0B0FA FF0000B1
	v_subrev_f32_dpp v89, v177, v89 quad_perm:[1,1,1,1] row_mask:0xf bank_mask:0xf// 00000000784C: 06B2B2FA FF0055B1
	v_subrev_f32_dpp v90, v177, v90 quad_perm:[2,2,2,2] row_mask:0xf bank_mask:0xf// 000000007854: 06B4B4FA FF00AAB1
	v_subrev_f32_dpp v91, v177, v91 quad_perm:[3,3,3,3] row_mask:0xf bank_mask:0xf// 00000000785C: 06B6B6FA FF00FFB1
	v_subrev_f32_dpp v92, v177, v92 quad_perm:[0,0,0,0] row_mask:0xf bank_mask:0xf// 000000007864: 06B8B8FA FF0000B1
	v_subrev_f32_dpp v93, v177, v93 quad_perm:[1,1,1,1] row_mask:0xf bank_mask:0xf// 00000000786C: 06BABAFA FF0055B1
	v_mfma_f32_16x16x16_bf16 v[218:221], v[128:129], v[168:169], v[218:221]// 000000007874: D3E100DA 076B5180
	ds_write_b32 v20, v56 offset:22016                         // 00000000787C: D81A5600 00003814
	ds_write_b32 v20, v57 offset:22560                         // 000000007884: D81A5820 00003914
	v_mfma_f32_16x16x16_bf16 v[222:225], v[130:131], v[168:169], v[222:225]// 00000000788C: D3E100DE 077B5182
	v_subrev_f32_dpp v94, v177, v94 quad_perm:[2,2,2,2] row_mask:0xf bank_mask:0xf// 000000007894: 06BCBCFA FF00AAB1
	v_subrev_f32_dpp v95, v177, v95 quad_perm:[3,3,3,3] row_mask:0xf bank_mask:0xf// 00000000789C: 06BEBEFA FF00FFB1
	v_subrev_f32_dpp v96, v177, v96 quad_perm:[0,0,0,0] row_mask:0xf bank_mask:0xf// 0000000078A4: 06C0C0FA FF0000B1
	v_subrev_f32_dpp v97, v177, v97 quad_perm:[1,1,1,1] row_mask:0xf bank_mask:0xf// 0000000078AC: 06C2C2FA FF0055B1
	v_subrev_f32_dpp v98, v177, v98 quad_perm:[2,2,2,2] row_mask:0xf bank_mask:0xf// 0000000078B4: 06C4C4FA FF00AAB1
	v_subrev_f32_dpp v99, v177, v99 quad_perm:[3,3,3,3] row_mask:0xf bank_mask:0xf// 0000000078BC: 06C6C6FA FF00FFB1
	v_mfma_f32_16x16x16_bf16 v[178:181], v[132:133], v[170:171], v[178:181]// 0000000078C4: D3E100B2 06CB5584
	v_mul_f32_e32 v88, v64, v88                                // 0000000078CC: 0AB0B140
	v_mul_f32_e32 v89, v65, v89                                // 0000000078D0: 0AB2B341
	v_mul_f32_e32 v90, v66, v90                                // 0000000078D4: 0AB4B542
	v_mul_f32_e32 v91, v67, v91                                // 0000000078D8: 0AB6B743
	v_mul_f32_e32 v92, v68, v92                                // 0000000078DC: 0AB8B944
	v_mul_f32_e32 v93, v69, v93                                // 0000000078E0: 0ABABB45
	v_mfma_f32_16x16x16_bf16 v[182:185], v[134:135], v[170:171], v[182:185]// 0000000078E4: D3E100B6 06DB5586
	v_mul_f32_e32 v94, v70, v94                                // 0000000078EC: 0ABCBD46
	v_mul_f32_e32 v95, v71, v95                                // 0000000078F0: 0ABEBF47
	v_mul_f32_e32 v96, v72, v96                                // 0000000078F4: 0AC0C148
	v_mul_f32_e32 v97, v73, v97                                // 0000000078F8: 0AC2C349
	v_mul_f32_e32 v98, v74, v98                                // 0000000078FC: 0AC4C54A
	v_mul_f32_e32 v99, v75, v99                                // 000000007900: 0AC6C74B
	v_mfma_f32_16x16x16_bf16 v[186:189], v[136:137], v[170:171], v[186:189]// 000000007904: D3E100BA 06EB5588
	v_perm_b32 v82, v89, v88, s64                              // 00000000790C: D1ED0052 0102B159
	v_perm_b32 v83, v91, v90, s64                              // 000000007914: D1ED0053 0102B55B
	v_perm_b32 v84, v93, v92, s64                              // 00000000791C: D1ED0054 0102B95D
	v_perm_b32 v85, v95, v94, s64                              // 000000007924: D1ED0055 0102BD5F
	v_perm_b32 v86, v97, v96, s64                              // 00000000792C: D1ED0056 0102C161
	v_perm_b32 v87, v99, v98, s64                              // 000000007934: D1ED0057 0102C563
	v_mfma_f32_16x16x16_bf16 v[190:193], v[138:139], v[170:171], v[190:193]// 00000000793C: D3E100BE 06FB558A
	v_mov_b32_dpp v18, v82 quad_perm:[1,0,3,2] row_mask:0xf bank_mask:0xf// 000000007944: 7E2402FA FF00B152
	v_perm_b32 v58, v18, v82, v17                              // 00000000794C: D1ED003A 0446A512
	v_mov_b32_dpp v18, v83 quad_perm:[1,0,3,2] row_mask:0xf bank_mask:0xf// 000000007954: 7E2402FA FF00B153
	v_perm_b32 v59, v18, v83, v17                              // 00000000795C: D1ED003B 0446A712
	v_mov_b32_dpp v18, v84 quad_perm:[1,0,3,2] row_mask:0xf bank_mask:0xf// 000000007964: 7E2402FA FF00B154
	v_perm_b32 v60, v18, v84, v17                              // 00000000796C: D1ED003C 0446A912
	v_mfma_f32_16x16x16_bf16 v[194:197], v[132:133], v[172:173], v[194:197]// 000000007974: D3E100C2 070B5984
	ds_write_b32 v20, v58 offset:24320                         // 00000000797C: D81A5F00 00003A14
	ds_write_b32 v20, v59 offset:24864                         // 000000007984: D81A6120 00003B14
	v_mfma_f32_16x16x16_bf16 v[198:201], v[134:135], v[172:173], v[198:201]// 00000000798C: D3E100C6 071B5986
	v_mov_b32_dpp v18, v85 quad_perm:[1,0,3,2] row_mask:0xf bank_mask:0xf// 000000007994: 7E2402FA FF00B155
	v_perm_b32 v61, v18, v85, v17                              // 00000000799C: D1ED003D 0446AB12
	v_mov_b32_dpp v18, v86 quad_perm:[1,0,3,2] row_mask:0xf bank_mask:0xf// 0000000079A4: 7E2402FA FF00B156
	v_perm_b32 v62, v18, v86, v17                              // 0000000079AC: D1ED003E 0446AD12
	v_mov_b32_dpp v18, v87 quad_perm:[1,0,3,2] row_mask:0xf bank_mask:0xf// 0000000079B4: 7E2402FA FF00B157
	v_perm_b32 v63, v18, v87, v17                              // 0000000079BC: D1ED003F 0446AF12
	v_mfma_f32_16x16x16_bf16 v[202:205], v[136:137], v[172:173], v[202:205]// 0000000079C4: D3E100CA 072B5988
	ds_write_b32 v20, v60 offset:26624                         // 0000000079CC: D81A6800 00003C14
	ds_write_b32 v20, v61 offset:27168                         // 0000000079D4: D81A6A20 00003D14
	ds_write_b32 v20, v62 offset:28928                         // 0000000079DC: D81A7100 00003E14
	ds_write_b32 v20, v63 offset:29472                         // 0000000079E4: D81A7320 00003F14
	v_mfma_f32_16x16x16_bf16 v[206:209], v[138:139], v[172:173], v[206:209]// 0000000079EC: D3E100CE 073B598A
	v_mfma_f32_16x16x16_bf16 v[210:213], v[132:133], v[174:175], v[210:213]// 0000000079F4: D3E100D2 074B5D84
	ds_write_b32 v15, v100 offset:4352                         // 0000000079FC: D81A1100 0000640F
	ds_write_b32 v15, v101 offset:5408                         // 000000007A04: D81A1520 0000650F
	v_mfma_f32_16x16x16_bf16 v[214:217], v[134:135], v[174:175], v[214:217]// 000000007A0C: D3E100D6 075B5D86
	v_mfma_f32_16x16x16_bf16 v[218:221], v[136:137], v[174:175], v[218:221]// 000000007A14: D3E100DA 076B5D88
	ds_write_b32 v15, v102 offset:6528                         // 000000007A1C: D81A1980 0000660F
	ds_write_b32 v15, v103 offset:7584                         // 000000007A24: D81A1DA0 0000670F
	v_mfma_f32_16x16x16_bf16 v[222:225], v[138:139], v[174:175], v[222:225]// 000000007A2C: D3E100DE 077B5D8A
	s_nop 0                                                    // 000000007A34: BF800000
	s_nop 0                                                    // 000000007A38: BF800000
	s_nop 0                                                    // 000000007A3C: BF800000
	s_barrier                                                  // 000000007A40: BF8A0000
	v_mfma_f32_16x16x16_bf16 a[112:115], a[96:97], v[76:77], a[112:115]// 000000007A44: D3E18070 0DC29960
	ds_read_b32 v140, v23 offset:39936                         // 000000007A4C: D86C9C00 8C000017
	ds_read_b32 v144, v23 offset:40000                         // 000000007A54: D86C9C40 90000017
	ds_read_b32 v176, v23 offset:40192                         // 000000007A5C: D86C9D00 B0000017
	ds_read_b32 v177, v23 offset:40256                         // 000000007A64: D86C9D40 B1000017
	v_mfma_f32_16x16x16_bf16 a[116:119], a[98:99], v[76:77], a[116:119]// 000000007A6C: D3E18074 0DD29962
	buffer_atomic_add_f32 v156, v6, s[32:35], 0 idxen          // 000000007A74: E1342000 80089C06
	v_mfma_f32_16x16x16_bf16 a[120:123], a[100:101], v[76:77], a[120:123]// 000000007A7C: D3E18078 0DE29964
	s_waitcnt lgkmcnt(8)                                       // 000000007A84: BF8CC87F
	s_barrier                                                  // 000000007A88: BF8A0000
	v_mfma_f32_16x16x16_bf16 a[124:127], a[102:103], v[76:77], a[124:127]// 000000007A8C: D3E1807C 0DF29966
	v_mfma_f32_16x16x16_bf16 a[128:131], a[96:97], v[78:79], a[128:131]// 000000007A94: D3E18080 0E029D60
	ds_read_b128 v[52:55], v19 offset:17408                    // 000000007A9C: D9FE4400 34000013
	v_mfma_f32_16x16x16_bf16 a[132:135], a[98:99], v[78:79], a[132:135]// 000000007AA4: D3E18084 0E129D62
	v_mfma_f32_16x16x16_bf16 a[136:139], a[100:101], v[78:79], a[136:139]// 000000007AAC: D3E18088 0E229D64
	ds_read_b128 v[56:59], v19 offset:18560                    // 000000007AB4: D9FE4880 38000013
	v_mfma_f32_16x16x16_bf16 a[140:143], a[102:103], v[78:79], a[140:143]// 000000007ABC: D3E1808C 0E329D66
	buffer_atomic_add_f32 v157, v7, s[32:35], 0 idxen          // 000000007AC4: E1342000 80089D07
	v_mfma_f32_16x16x16_bf16 a[144:147], a[96:97], v[80:81], a[144:147]// 000000007ACC: D3E18090 0E42A160
	ds_read_b128 v[60:63], v19 offset:19712                    // 000000007AD4: D9FE4D00 3C000013
	v_mfma_f32_16x16x16_bf16 a[148:151], a[98:99], v[80:81], a[148:151]// 000000007ADC: D3E18094 0E52A162
	v_mfma_f32_16x16x16_bf16 a[152:155], a[100:101], v[80:81], a[152:155]// 000000007AE4: D3E18098 0E62A164
	ds_read_b128 v[64:67], v19 offset:20864                    // 000000007AEC: D9FE5180 40000013
	v_mfma_f32_16x16x16_bf16 a[156:159], a[102:103], v[80:81], a[156:159]// 000000007AF4: D3E1809C 0E72A166
	v_mfma_f32_16x16x16_bf16 a[112:115], a[104:105], v[82:83], a[112:115]// 000000007AFC: D3E18070 0DC2A568
	ds_read_b128 v[68:71], v19 offset:22016                    // 000000007B04: D9FE5600 44000013
	v_mfma_f32_16x16x16_bf16 a[116:119], a[106:107], v[82:83], a[116:119]// 000000007B0C: D3E18074 0DD2A56A
	buffer_atomic_add_f32 v158, v6, s[32:35], 0 idxen offset:128// 000000007B14: E1342080 80089E06
	v_mfma_f32_16x16x16_bf16 a[120:123], a[108:109], v[82:83], a[120:123]// 000000007B1C: D3E18078 0DE2A56C
	ds_read_b128 v[72:75], v19 offset:23168                    // 000000007B24: D9FE5A80 48000013
	v_mfma_f32_16x16x16_bf16 a[124:127], a[110:111], v[82:83], a[124:127]// 000000007B2C: D3E1807C 0DF2A56E
	v_mfma_f32_16x16x16_bf16 a[128:131], a[104:105], v[84:85], a[128:131]// 000000007B34: D3E18080 0E02A968
	ds_write_b32 v15, v104 offset:13056                        // 000000007B3C: D81A3300 0000680F
	v_mfma_f32_16x16x16_bf16 a[132:135], a[106:107], v[84:85], a[132:135]// 000000007B44: D3E18084 0E12A96A
	v_mfma_f32_16x16x16_bf16 a[136:139], a[108:109], v[84:85], a[136:139]// 000000007B4C: D3E18088 0E22A96C
	ds_write_b32 v15, v105 offset:14112                        // 000000007B54: D81A3720 0000690F
	v_mfma_f32_16x16x16_bf16 a[140:143], a[110:111], v[84:85], a[140:143]// 000000007B5C: D3E1808C 0E32A96E
	buffer_atomic_add_f32 v159, v7, s[32:35], 0 idxen offset:128// 000000007B64: E1342080 80089F07
	v_mfma_f32_16x16x16_bf16 a[144:147], a[104:105], v[86:87], a[144:147]// 000000007B6C: D3E18090 0E42AD68
	ds_write_b32 v15, v106 offset:15232                        // 000000007B74: D81A3B80 00006A0F
	v_mfma_f32_16x16x16_bf16 a[148:151], a[106:107], v[86:87], a[148:151]// 000000007B7C: D3E18094 0E52AD6A
	v_mfma_f32_16x16x16_bf16 a[152:155], a[108:109], v[86:87], a[152:155]// 000000007B84: D3E18098 0E62AD6C
	ds_write_b32 v15, v107 offset:16288                        // 000000007B8C: D81A3FA0 00006B0F
	v_mfma_f32_16x16x16_bf16 a[156:159], a[110:111], v[86:87], a[156:159]// 000000007B94: D3E1809C 0E72AD6E
	s_waitcnt vmcnt(8) lgkmcnt(4)                              // 000000007B9C: BF8C0478
	s_barrier                                                  // 000000007BA0: BF8A0000
	v_mfma_f32_16x16x16_bf16 v[148:151], v[52:53], a[24:25], 0 // 000000007BA4: D3E10094 12023134
	ds_read_b128 a[96:99], v12                                 // 000000007BAC: DBFE0000 6000000C
	buffer_load_dword v40, v1, s[8:11], 0 idxen                // 000000007BB4: E0502000 80022801
	v_mfma_f32_16x16x16_bf16 v[148:151], v[54:55], a[28:29], v[148:151]// 000000007BBC: D3E10094 16523936
	v_mul_f32_e32 v140, s48, v140                              // 000000007BC4: 0B191830
	v_mul_f32_e32 v144, s48, v144                              // 000000007BC8: 0B212030
	s_nop 0                                                    // 000000007BCC: BF800000
	v_mfma_f32_16x16x16_bf16 v[148:151], v[56:57], a[32:33], v[148:151]// 000000007BD0: D3E10094 16524138
	ds_read_b128 a[100:103], v12 offset:512                    // 000000007BD8: DBFE0200 6400000C
	buffer_load_dword v41, v2, s[8:11], 0 idxen                // 000000007BE0: E0502000 80022902
	v_mfma_f32_16x16x16_bf16 v[148:151], v[58:59], a[36:37], v[148:151]// 000000007BE8: D3E10094 1652493A
	v_mfma_f32_16x16x16_bf16 v[148:151], v[60:61], a[40:41], v[148:151]// 000000007BF0: D3E10094 1652513C
	ds_read_b128 a[104:107], v12 offset:2176                   // 000000007BF8: DBFE0880 6800000C
	buffer_load_dword v42, v3, s[8:11], 0 idxen                // 000000007C00: E0502000 80022A03
	v_mfma_f32_16x16x16_bf16 v[148:151], v[62:63], a[44:45], v[148:151]// 000000007C08: D3E10094 1652593E
	v_perm_b32 v100, v37, v36, s63                             // 000000007C10: D1ED0064 00FE4925
	v_perm_b32 v101, v37, v36, s64                             // 000000007C18: D1ED0065 01024925
	v_mfma_f32_16x16x16_bf16 v[148:151], v[64:65], a[48:49], v[148:151]// 000000007C20: D3E10094 16526140
	ds_read_b128 a[108:111], v12 offset:2688                   // 000000007C28: DBFE0A80 6C00000C
	buffer_load_dword v43, v4, s[8:11], 0 idxen                // 000000007C30: E0502000 80022B04
	v_mfma_f32_16x16x16_bf16 v[148:151], v[66:67], a[52:53], v[148:151]// 000000007C38: D3E10094 16526942
	v_perm_b32 v102, v39, v38, s63                             // 000000007C40: D1ED0066 00FE4D27
	v_perm_b32 v103, v39, v38, s64                             // 000000007C48: D1ED0067 01024D27
	v_mfma_f32_16x16x16_bf16 v[148:151], v[68:69], a[56:57], v[148:151]// 000000007C50: D3E10094 16527144
	ds_read_b128 v[108:111], v12 offset:8704                   // 000000007C58: D9FE2200 6C00000C
	buffer_load_dword v48, v231, s[20:23], 0 idxen             // 000000007C60: E0502000 800530E7
	v_mfma_f32_16x16x16_bf16 v[148:151], v[70:71], a[60:61], v[148:151]// 000000007C68: D3E10094 16527946
	v_perm_b32 v104, v45, v44, s63                             // 000000007C70: D1ED0068 00FE592D
	v_perm_b32 v105, v45, v44, s64                             // 000000007C78: D1ED0069 0102592D
	v_mfma_f32_16x16x16_bf16 v[148:151], v[72:73], a[64:65], v[148:151]// 000000007C80: D3E10094 16528148
	ds_read_b128 v[112:115], v12 offset:9216                   // 000000007C88: D9FE2400 7000000C
	buffer_load_dword v49, v232, s[20:23], 0 idxen             // 000000007C90: E0502000 800531E8
	v_mfma_f32_16x16x16_bf16 v[148:151], v[74:75], a[68:69], v[148:151]// 000000007C98: D3E10094 1652894A
	v_perm_b32 v106, v47, v46, s63                             // 000000007CA0: D1ED006A 00FE5D2F
	v_perm_b32 v107, v47, v46, s64                             // 000000007CA8: D1ED006B 01025D2F
	v_mfma_f32_16x16x16_bf16 v[152:155], v[52:53], a[26:27], 0 // 000000007CB0: D3E10098 12023534
	ds_read_b128 v[116:119], v12 offset:10880                  // 000000007CB8: D9FE2A80 7400000C
	buffer_load_dword v50, v233, s[20:23], 0 idxen             // 000000007CC0: E0502000 800532E9
	v_mfma_f32_16x16x16_bf16 v[152:155], v[54:55], a[30:31], v[152:155]// 000000007CC8: D3E10098 16623D36
	v_mov_b32_dpp v143, v140 quad_perm:[3,3,3,3] row_mask:0xf bank_mask:0xf// 000000007CD0: 7F1E02FA FF00FF8C
	v_mov_b32_dpp v142, v140 quad_perm:[2,2,2,2] row_mask:0xf bank_mask:0xf// 000000007CD8: 7F1C02FA FF00AA8C
	v_mov_b32_dpp v141, v140 quad_perm:[1,1,1,1] row_mask:0xf bank_mask:0xf// 000000007CE0: 7F1A02FA FF00558C
	v_mov_b32_dpp v140, v140 quad_perm:[0,0,0,0] row_mask:0xf bank_mask:0xf// 000000007CE8: 7F1802FA FF00008C
	v_mfma_f32_16x16x16_bf16 v[152:155], v[56:57], a[34:35], v[152:155]// 000000007CF0: D3E10098 16624538
	ds_read_b128 v[120:123], v12 offset:11392                  // 000000007CF8: D9FE2C80 7800000C
	buffer_load_dword v51, v234, s[20:23], 0 idxen             // 000000007D00: E0502000 800533EA
	v_mfma_f32_16x16x16_bf16 v[152:155], v[58:59], a[38:39], v[152:155]// 000000007D08: D3E10098 16624D3A
	v_mov_b32_dpp v147, v144 quad_perm:[3,3,3,3] row_mask:0xf bank_mask:0xf// 000000007D10: 7F2602FA FF00FF90
	v_mov_b32_dpp v146, v144 quad_perm:[2,2,2,2] row_mask:0xf bank_mask:0xf// 000000007D18: 7F2402FA FF00AA90
	v_mov_b32_dpp v145, v144 quad_perm:[1,1,1,1] row_mask:0xf bank_mask:0xf// 000000007D20: 7F2202FA FF005590
	v_mov_b32_dpp v144, v144 quad_perm:[0,0,0,0] row_mask:0xf bank_mask:0xf// 000000007D28: 7F2002FA FF000090
	s_add_u32 s60, 0x80, s59                                   // 000000007D30: 803C3BFF 00000080
	v_mfma_f32_16x16x16_bf16 v[152:155], v[60:61], a[42:43], v[152:155]// 000000007D38: D3E10098 1662553C
	buffer_load_dword v11, s[24:27], 0 idxen lds               // 000000007D40: E0512000 8006000B
	v_mfma_f32_16x16x16_bf16 v[152:155], v[62:63], a[46:47], v[152:155]// 000000007D48: D3E10098 16625D3E
	s_cmp_lt_u32 s60, s58                                      // 000000007D50: BF0A3A3C
	s_cselect_b32 s68, s68, 0                                  // 000000007D54: 85448044
	s_cselect_b32 s81, s81, 0                                  // 000000007D58: 85518051
	s_cselect_b32 s69, s69, 0                                  // 000000007D5C: 85458045
	v_mfma_f32_16x16x16_bf16 v[152:155], v[64:65], a[50:51], v[152:155]// 000000007D60: D3E10098 16626540
	v_add_u32_e32 v1, s68, v1                                  // 000000007D68: 68020244
	v_add_u32_e32 v2, s68, v2                                  // 000000007D6C: 68040444
	v_add_u32_e32 v3, s68, v3                                  // 000000007D70: 68060644
	v_add_u32_e32 v4, s68, v4                                  // 000000007D74: 68080844
	v_mfma_f32_16x16x16_bf16 v[152:155], v[66:67], a[54:55], v[152:155]// 000000007D78: D3E10098 16626D42
	v_add_u32_e32 v231, s81, v231                              // 000000007D80: 69CFCE51
	v_add_u32_e32 v232, s81, v232                              // 000000007D84: 69D1D051
	v_add_u32_e32 v233, s81, v233                              // 000000007D88: 69D3D251
	v_add_u32_e32 v234, s81, v234                              // 000000007D8C: 69D5D451
	v_mfma_f32_16x16x16_bf16 v[152:155], v[68:69], a[58:59], v[152:155]// 000000007D90: D3E10098 16627544
	s_mov_b32 m0, s76                                          // 000000007D98: BEFC004C
	v_add_u32_e32 v11, s69, v11                                // 000000007D9C: 68161645
	v_mfma_f32_16x16x16_bf16 v[152:155], v[70:71], a[62:63], v[152:155]// 000000007DA0: D3E10098 16627D46
	s_cmp_ge_u32 s59, 32                                       // 000000007DA8: BF09A03B
	s_cselect_b32 s66, s67, s66                                // 000000007DAC: 85424243
	v_mfma_f32_16x16x16_bf16 v[152:155], v[72:73], a[66:67], v[152:155]// 000000007DB0: D3E10098 16628548
	s_addk_i32 s59, 0x20                                       // 000000007DB8: B73B0020
	s_nop 0                                                    // 000000007DBC: BF800000
	s_cmp_lt_i32 s59, s58                                      // 000000007DC0: BF043A3B
	v_mfma_f32_16x16x16_bf16 v[152:155], v[74:75], a[70:71], v[152:155]// 000000007DC4: D3E10098 16628D4A
	s_cbranch_scc0 label_0CC2                                  // 000000007DCC: BF84FCBC
	s_waitcnt lgkmcnt(4)                                       // 000000007DD0: BF8CC47F
	s_barrier                                                  // 000000007DD4: BF8A0000
	v_mfma_f32_16x16x16_bf16 v[52:55], a[96:97], a[0:1], 0     // 000000007DD8: D3E10034 1A020160
	v_mul_f32_e32 v148, s47, v148                              // 000000007DE0: 0B29282F
	v_mul_f32_e32 v149, s47, v149                              // 000000007DE4: 0B2B2A2F
	v_mfma_f32_16x16x16_bf16 v[52:55], a[98:99], a[2:3], v[52:55]// 000000007DE8: D3E10034 1CD20562
	ds_write_b32 v13, v44 offset:8704                          // 000000007DF0: D81A2200 00002C0D
	ds_write_b32 v13, v45 offset:9760                          // 000000007DF8: D81A2620 00002D0D
	v_mfma_f32_16x16x16_bf16 v[52:55], a[100:101], a[4:5], v[52:55]// 000000007E00: D3E10034 1CD20964
	v_mul_f32_e32 v150, s47, v150                              // 000000007E08: 0B2D2C2F
	v_mul_f32_e32 v151, s47, v151                              // 000000007E0C: 0B2F2E2F
	v_mfma_f32_16x16x16_bf16 v[52:55], a[102:103], a[6:7], v[52:55]// 000000007E10: D3E10034 1CD20D66
	ds_write_b32 v13, v46 offset:10880                         // 000000007E18: D81A2A80 00002E0D
	ds_write_b32 v13, v47 offset:11936                         // 000000007E20: D81A2EA0 00002F0D
	v_mfma_f32_16x16x16_bf16 v[56:59], a[96:97], a[8:9], 0     // 000000007E28: D3E10038 1A021160
	v_mul_f32_e32 v152, s47, v152                              // 000000007E30: 0B31302F
	v_mul_f32_e32 v153, s47, v153                              // 000000007E34: 0B33322F
	v_mfma_f32_16x16x16_bf16 v[56:59], a[98:99], a[10:11], v[56:59]// 000000007E38: D3E10038 1CE21562
	ds_write_b64 v22, v[148:149] offset:31232                  // 000000007E40: D89A7A00 00009416
	v_mfma_f32_16x16x16_bf16 v[56:59], a[100:101], a[12:13], v[56:59]// 000000007E48: D3E10038 1CE21964
	v_mul_f32_e32 v154, s47, v154                              // 000000007E50: 0B35342F
	v_mul_f32_e32 v155, s47, v155                              // 000000007E54: 0B37362F
	v_mfma_f32_16x16x16_bf16 v[56:59], a[102:103], a[14:15], v[56:59]// 000000007E58: D3E10038 1CE21D66
	ds_write_b64 v22, v[150:151] offset:31744                  // 000000007E60: D89A7C00 00009616
	v_mfma_f32_16x16x16_bf16 v[60:63], a[96:97], a[16:17], 0   // 000000007E68: D3E1003C 1A022160
	buffer_atomic_add_f32 v160, v8, s[32:35], 0 idxen          // 000000007E70: E1342000 8008A008
	v_mfma_f32_16x16x16_bf16 v[60:63], a[98:99], a[18:19], v[60:63]// 000000007E78: D3E1003C 1CF22562
	ds_write_b64 v22, v[152:153] offset:32256                  // 000000007E80: D89A7E00 00009816
	v_mfma_f32_16x16x16_bf16 v[60:63], a[100:101], a[20:21], v[60:63]// 000000007E88: D3E1003C 1CF22964
	v_mfma_f32_16x16x16_bf16 v[60:63], a[102:103], a[22:23], v[60:63]// 000000007E90: D3E1003C 1CF22D66
	ds_write_b64 v22, v[154:155] offset:32768                  // 000000007E98: D89A8000 00009A16
	v_mfma_f32_16x16x16_bf16 v[64:67], a[104:105], a[0:1], 0   // 000000007EA0: D3E10040 1A020168
	buffer_atomic_add_f32 v161, v9, s[32:35], 0 idxen          // 000000007EA8: E1342000 8008A109
	v_mfma_f32_16x16x16_bf16 v[64:67], a[106:107], a[2:3], v[64:67]// 000000007EB0: D3E10040 1D02056A
	ds_read_b128 v[124:127], v14 offset:13056                  // 000000007EB8: D9FE3300 7C00000E
	ds_write_b32 v13, v36                                      // 000000007EC0: D81A0000 0000240D
	v_mfma_f32_16x16x16_bf16 v[64:67], a[108:109], a[4:5], v[64:67]// 000000007EC8: D3E10040 1D02096C
	v_mfma_f32_16x16x16_bf16 v[64:67], a[110:111], a[6:7], v[64:67]// 000000007ED0: D3E10040 1D020D6E
	v_mfma_f32_16x16x16_bf16 v[68:71], a[104:105], a[8:9], 0   // 000000007ED8: D3E10044 1A021168
	ds_read_b128 v[128:131], v14 offset:13568                  // 000000007EE0: D9FE3500 8000000E
	ds_write_b32 v13, v37 offset:1056                          // 000000007EE8: D81A0420 0000250D
	v_mfma_f32_16x16x16_bf16 v[68:71], a[106:107], a[10:11], v[68:71]// 000000007EF0: D3E10044 1D12156A
	buffer_atomic_add_f32 v162, v8, s[32:35], 0 idxen offset:128// 000000007EF8: E1342080 8008A208
	v_mfma_f32_16x16x16_bf16 v[68:71], a[108:109], a[12:13], v[68:71]// 000000007F00: D3E10044 1D12196C
	v_mfma_f32_16x16x16_bf16 v[68:71], a[110:111], a[14:15], v[68:71]// 000000007F08: D3E10044 1D121D6E
	ds_read_b128 v[132:135], v14 offset:15232                  // 000000007F10: D9FE3B80 8400000E
	ds_write_b32 v13, v38 offset:2176                          // 000000007F18: D81A0880 0000260D
	v_mfma_f32_16x16x16_bf16 v[72:75], a[104:105], a[16:17], 0 // 000000007F20: D3E10048 1A022168
	v_mfma_f32_16x16x16_bf16 v[72:75], a[106:107], a[18:19], v[72:75]// 000000007F28: D3E10048 1D22256A
	buffer_atomic_add_f32 v163, v9, s[32:35], 0 idxen offset:128// 000000007F30: E1342080 8008A309
	v_mfma_f32_16x16x16_bf16 v[72:75], a[108:109], a[20:21], v[72:75]// 000000007F38: D3E10048 1D22296C
	ds_read_b128 v[136:139], v14 offset:15744                  // 000000007F40: D9FE3D80 8800000E
	ds_write_b32 v13, v39 offset:3232                          // 000000007F48: D81A0CA0 0000270D
	v_mfma_f32_16x16x16_bf16 v[72:75], a[110:111], a[22:23], v[72:75]// 000000007F50: D3E10048 1D222D6E
	s_cmp_lt_i32 s83, 0xc0                                     // 000000007F58: BF04FF53 000000C0
	s_cbranch_scc0 label_10EA                                  // 000000007F60: BF84006D
	s_cmp_le_i32 s83, 64                                       // 000000007F64: BF05C053
	s_cbranch_scc1 label_107D                                  // 000000007F68: BF850007
	s_cmp_le_i32 s83, 0x80                                     // 000000007F6C: BF05FF53 00000080
	s_cbranch_scc1 label_10A1                                  // 000000007F74: BF85001F
	s_cmp_lt_i32 s83, 0xc0                                     // 000000007F78: BF04FF53 000000C0
	s_cbranch_scc1 label_10C5                                  // 000000007F80: BF850040
	s_branch label_10EA                                        // 000000007F84: BF820064

0000000000007f88 <label_107D>:
	s_mov_b32 s60, 0                                           // 000000007F88: BEBC0080
	v_and_b32_e32 v32, 15, v0                                  // 000000007F8C: 2640008F
	v_add_u32_e64 v32, v32, s60                                // 000000007F90: D1340020 00007920
	v_mul_i32_i24_e64 v33, s46, 16                             // 000000007F98: D1060021 0001202E
	v_add_u32_e32 v32, v32, v33                                // 000000007FA0: 68404320
	v_cmp_lt_u32_e64 s[60:61], v32, s83                        // 000000007FA4: D0C9003C 0000A720
	s_nop 1                                                    // 000000007FAC: BF800001
	v_cndmask_b32_e64 v52, v230, v52, s[60:61]                 // 000000007FB0: D1000034 00F269E6
	v_cndmask_b32_e64 v64, v230, v64, s[60:61]                 // 000000007FB8: D1000040 00F281E6
	v_cndmask_b32_e64 v53, v230, v53, s[60:61]                 // 000000007FC0: D1000035 00F26BE6
	v_cndmask_b32_e64 v65, v230, v65, s[60:61]                 // 000000007FC8: D1000041 00F283E6
	v_cndmask_b32_e64 v54, v230, v54, s[60:61]                 // 000000007FD0: D1000036 00F26DE6
	v_cndmask_b32_e64 v66, v230, v66, s[60:61]                 // 000000007FD8: D1000042 00F285E6
	v_cndmask_b32_e64 v55, v230, v55, s[60:61]                 // 000000007FE0: D1000037 00F26FE6
	v_cndmask_b32_e64 v67, v230, v67, s[60:61]                 // 000000007FE8: D1000043 00F287E6
	s_branch label_10BC                                        // 000000007FF0: BF82001B

0000000000007ff4 <label_10A1>:
	s_mov_b32 s60, 64                                          // 000000007FF4: BEBC00C0
	v_and_b32_e32 v32, 15, v0                                  // 000000007FF8: 2640008F
	v_add_u32_e64 v32, v32, s60                                // 000000007FFC: D1340020 00007920
	v_mul_i32_i24_e64 v33, s46, 16                             // 000000008004: D1060021 0001202E
	v_add_u32_e32 v32, v32, v33                                // 00000000800C: 68404320
	v_cmp_lt_u32_e64 s[60:61], v32, s83                        // 000000008010: D0C9003C 0000A720
	s_nop 1                                                    // 000000008018: BF800001
	v_cndmask_b32_e64 v56, v230, v56, s[60:61]                 // 00000000801C: D1000038 00F271E6
	v_cndmask_b32_e64 v68, v230, v68, s[60:61]                 // 000000008024: D1000044 00F289E6
	v_cndmask_b32_e64 v57, v230, v57, s[60:61]                 // 00000000802C: D1000039 00F273E6
	v_cndmask_b32_e64 v69, v230, v69, s[60:61]                 // 000000008034: D1000045 00F28BE6
	v_cndmask_b32_e64 v58, v230, v58, s[60:61]                 // 00000000803C: D100003A 00F275E6
	v_cndmask_b32_e64 v70, v230, v70, s[60:61]                 // 000000008044: D1000046 00F28DE6
	v_cndmask_b32_e64 v59, v230, v59, s[60:61]                 // 00000000804C: D100003B 00F277E6
	v_cndmask_b32_e64 v71, v230, v71, s[60:61]                 // 000000008054: D1000047 00F28FE6
	s_branch label_10E1                                        // 00000000805C: BF820025

0000000000008060 <label_10BC>:
	v_mov_b32_e32 v56, v230                                    // 000000008060: 7E7003E6
	v_mov_b32_e32 v68, v230                                    // 000000008064: 7E8803E6
	v_mov_b32_e32 v57, v230                                    // 000000008068: 7E7203E6
	v_mov_b32_e32 v69, v230                                    // 00000000806C: 7E8A03E6
	v_mov_b32_e32 v58, v230                                    // 000000008070: 7E7403E6
	v_mov_b32_e32 v70, v230                                    // 000000008074: 7E8C03E6
	v_mov_b32_e32 v59, v230                                    // 000000008078: 7E7603E6
	v_mov_b32_e32 v71, v230                                    // 00000000807C: 7E8E03E6
	s_branch label_10E1                                        // 000000008080: BF82001C

0000000000008084 <label_10C5>:
	s_mov_b32 s60, 0x80                                        // 000000008084: BEBC00FF 00000080
	v_and_b32_e32 v32, 15, v0                                  // 00000000808C: 2640008F
	v_add_u32_e64 v32, v32, s60                                // 000000008090: D1340020 00007920
	v_mul_i32_i24_e64 v33, s46, 16                             // 000000008098: D1060021 0001202E
	v_add_u32_e32 v32, v32, v33                                // 0000000080A0: 68404320
	v_cmp_lt_u32_e64 s[60:61], v32, s83                        // 0000000080A4: D0C9003C 0000A720
	s_nop 1                                                    // 0000000080AC: BF800001
	v_cndmask_b32_e64 v60, v230, v60, s[60:61]                 // 0000000080B0: D100003C 00F279E6
	v_cndmask_b32_e64 v72, v230, v72, s[60:61]                 // 0000000080B8: D1000048 00F291E6
	v_cndmask_b32_e64 v61, v230, v61, s[60:61]                 // 0000000080C0: D100003D 00F27BE6
	v_cndmask_b32_e64 v73, v230, v73, s[60:61]                 // 0000000080C8: D1000049 00F293E6
	v_cndmask_b32_e64 v62, v230, v62, s[60:61]                 // 0000000080D0: D100003E 00F27DE6
	v_cndmask_b32_e64 v74, v230, v74, s[60:61]                 // 0000000080D8: D100004A 00F295E6
	v_cndmask_b32_e64 v63, v230, v63, s[60:61]                 // 0000000080E0: D100003F 00F27FE6
	v_cndmask_b32_e64 v75, v230, v75, s[60:61]                 // 0000000080E8: D100004B 00F297E6
	s_branch label_10EA                                        // 0000000080F0: BF820009

00000000000080f4 <label_10E1>:
	v_mov_b32_e32 v60, v230                                    // 0000000080F4: 7E7803E6
	v_mov_b32_e32 v72, v230                                    // 0000000080F8: 7E9003E6
	v_mov_b32_e32 v61, v230                                    // 0000000080FC: 7E7A03E6
	v_mov_b32_e32 v73, v230                                    // 000000008100: 7E9203E6
	v_mov_b32_e32 v62, v230                                    // 000000008104: 7E7C03E6
	v_mov_b32_e32 v74, v230                                    // 000000008108: 7E9403E6
	v_mov_b32_e32 v63, v230                                    // 00000000810C: 7E7E03E6
	v_mov_b32_e32 v75, v230                                    // 000000008110: 7E9603E6
	s_branch label_10EA                                        // 000000008114: BF820000

0000000000008118 <label_10EA>:
	s_waitcnt lgkmcnt(8)                                       // 000000008118: BF8CC87F
	s_barrier                                                  // 00000000811C: BF8A0000
	v_mfma_f32_16x16x16_bf16 v[76:79], v[108:109], a[72:73], 0 // 000000008120: D3E1004C 1202916C
	v_fma_f32 v52, v52, s57, -v140                             // 000000008128: D1CB0034 86307334
	v_fma_f32 v53, v53, s57, -v141                             // 000000008130: D1CB0035 86347335
	v_fma_f32 v54, v54, s57, -v142                             // 000000008138: D1CB0036 86387336
	v_fma_f32 v55, v55, s57, -v143                             // 000000008140: D1CB0037 863C7337
	v_fma_f32 v56, v56, s57, -v140                             // 000000008148: D1CB0038 86307338
	v_fma_f32 v57, v57, s57, -v141                             // 000000008150: D1CB0039 86347339
	v_mfma_f32_16x16x16_bf16 v[76:79], v[110:111], a[74:75], v[76:79]// 000000008158: D3E1004C 1532956E
	ds_read_b128 a[96:99], v14 offset:4352                     // 000000008160: DBFE1100 6000000E
	ds_read_b128 a[100:103], v14 offset:4864                   // 000000008168: DBFE1300 6400000E
	v_mfma_f32_16x16x16_bf16 v[76:79], v[112:113], a[76:77], v[76:79]// 000000008170: D3E1004C 15329970
	v_fma_f32 v58, v58, s57, -v142                             // 000000008178: D1CB003A 8638733A
	v_fma_f32 v59, v59, s57, -v143                             // 000000008180: D1CB003B 863C733B
	v_fma_f32 v60, v60, s57, -v140                             // 000000008188: D1CB003C 8630733C
	v_fma_f32 v61, v61, s57, -v141                             // 000000008190: D1CB003D 8634733D
	v_fma_f32 v62, v62, s57, -v142                             // 000000008198: D1CB003E 8638733E
	v_fma_f32 v63, v63, s57, -v143                             // 0000000081A0: D1CB003F 863C733F
	v_mfma_f32_16x16x16_bf16 v[76:79], v[114:115], a[78:79], v[76:79]// 0000000081A8: D3E1004C 15329D72
	v_fma_f32 v64, v64, s57, -v144                             // 0000000081B0: D1CB0040 86407340
	v_fma_f32 v65, v65, s57, -v145                             // 0000000081B8: D1CB0041 86447341
	v_fma_f32 v66, v66, s57, -v146                             // 0000000081C0: D1CB0042 86487342
	v_fma_f32 v67, v67, s57, -v147                             // 0000000081C8: D1CB0043 864C7343
	v_fma_f32 v68, v68, s57, -v144                             // 0000000081D0: D1CB0044 86407344
	v_fma_f32 v69, v69, s57, -v145                             // 0000000081D8: D1CB0045 86447345
	v_mfma_f32_16x16x16_bf16 v[80:83], v[108:109], a[80:81], 0 // 0000000081E0: D3E10050 1202A16C
	v_fma_f32 v70, v70, s57, -v146                             // 0000000081E8: D1CB0046 86487346
	v_fma_f32 v71, v71, s57, -v147                             // 0000000081F0: D1CB0047 864C7347
	v_fma_f32 v72, v72, s57, -v144                             // 0000000081F8: D1CB0048 86407348
	v_fma_f32 v73, v73, s57, -v145                             // 000000008200: D1CB0049 86447349
	v_fma_f32 v74, v74, s57, -v146                             // 000000008208: D1CB004A 8648734A
	v_fma_f32 v75, v75, s57, -v147                             // 000000008210: D1CB004B 864C734B
	v_mfma_f32_16x16x16_bf16 v[80:83], v[110:111], a[82:83], v[80:83]// 000000008218: D3E10050 1542A56E
	ds_read_b128 a[104:107], v14 offset:6528                   // 000000008220: DBFE1980 6800000E
	ds_read_b128 a[108:111], v14 offset:7040                   // 000000008228: DBFE1B80 6C00000E
	v_mfma_f32_16x16x16_bf16 v[80:83], v[112:113], a[84:85], v[80:83]// 000000008230: D3E10050 1542A970
	v_exp_f32_e32 v52, v52                                     // 000000008238: 7E684134
	v_exp_f32_e32 v53, v53                                     // 00000000823C: 7E6A4135
	v_mfma_f32_16x16x16_bf16 v[80:83], v[114:115], a[86:87], v[80:83]// 000000008240: D3E10050 1542AD72
	v_exp_f32_e32 v54, v54                                     // 000000008248: 7E6C4136
	v_exp_f32_e32 v55, v55                                     // 00000000824C: 7E6E4137
	v_mfma_f32_16x16x16_bf16 v[84:87], v[108:109], a[88:89], 0 // 000000008250: D3E10054 1202B16C
	v_exp_f32_e32 v56, v56                                     // 000000008258: 7E704138
	v_exp_f32_e32 v57, v57                                     // 00000000825C: 7E724139
	v_mfma_f32_16x16x16_bf16 v[84:87], v[110:111], a[90:91], v[84:87]// 000000008260: D3E10054 1552B56E
	ds_read_b64 v[156:157], v21 offset:31232                   // 000000008268: D8EC7A00 9C000015
	ds_read_b64 v[158:159], v21 offset:33280                   // 000000008270: D8EC8200 9E000015
	v_mfma_f32_16x16x16_bf16 v[84:87], v[112:113], a[92:93], v[84:87]// 000000008278: D3E10054 1552B970
	v_exp_f32_e32 v58, v58                                     // 000000008280: 7E74413A
	v_exp_f32_e32 v59, v59                                     // 000000008284: 7E76413B
	v_mfma_f32_16x16x16_bf16 v[84:87], v[114:115], a[94:95], v[84:87]// 000000008288: D3E10054 1552BD72
	ds_read_b64 v[160:161], v21 offset:35328                   // 000000008290: D8EC8A00 A0000015
	ds_read_b64 v[162:163], v21 offset:37376                   // 000000008298: D8EC9200 A2000015
	v_mfma_f32_16x16x16_bf16 v[88:91], v[116:117], a[72:73], 0 // 0000000082A0: D3E10058 12029174
	v_exp_f32_e32 v60, v60                                     // 0000000082A8: 7E78413C
	v_exp_f32_e32 v61, v61                                     // 0000000082AC: 7E7A413D
	v_mfma_f32_16x16x16_bf16 v[88:91], v[118:119], a[74:75], v[88:91]// 0000000082B0: D3E10058 15629576
	v_exp_f32_e32 v62, v62                                     // 0000000082B8: 7E7C413E
	v_exp_f32_e32 v63, v63                                     // 0000000082BC: 7E7E413F
	v_mfma_f32_16x16x16_bf16 v[88:91], v[120:121], a[76:77], v[88:91]// 0000000082C0: D3E10058 15629978
	v_exp_f32_e32 v64, v64                                     // 0000000082C8: 7E804140
	v_exp_f32_e32 v65, v65                                     // 0000000082CC: 7E824141
	v_mfma_f32_16x16x16_bf16 v[88:91], v[122:123], a[78:79], v[88:91]// 0000000082D0: D3E10058 15629D7A
	v_exp_f32_e32 v66, v66                                     // 0000000082D8: 7E844142
	v_exp_f32_e32 v67, v67                                     // 0000000082DC: 7E864143
	v_mfma_f32_16x16x16_bf16 v[92:95], v[116:117], a[80:81], 0 // 0000000082E0: D3E1005C 1202A174
	v_exp_f32_e32 v68, v68                                     // 0000000082E8: 7E884144
	v_exp_f32_e32 v69, v69                                     // 0000000082EC: 7E8A4145
	v_mfma_f32_16x16x16_bf16 v[92:95], v[118:119], a[82:83], v[92:95]// 0000000082F0: D3E1005C 1572A576
	v_exp_f32_e32 v70, v70                                     // 0000000082F8: 7E8C4146
	v_exp_f32_e32 v71, v71                                     // 0000000082FC: 7E8E4147
	v_mfma_f32_16x16x16_bf16 v[92:95], v[120:121], a[84:85], v[92:95]// 000000008300: D3E1005C 1572A978
	v_exp_f32_e32 v72, v72                                     // 000000008308: 7E904148
	v_exp_f32_e32 v73, v73                                     // 00000000830C: 7E924149
	v_mfma_f32_16x16x16_bf16 v[92:95], v[122:123], a[86:87], v[92:95]// 000000008310: D3E1005C 1572AD7A
	v_exp_f32_e32 v74, v74                                     // 000000008318: 7E94414A
	v_exp_f32_e32 v75, v75                                     // 00000000831C: 7E96414B
	v_mfma_f32_16x16x16_bf16 v[96:99], v[116:117], a[88:89], 0 // 000000008320: D3E10060 1202B174
	v_perm_b32 v164, v53, v52, s64                             // 000000008328: D1ED00A4 01026935
	v_perm_b32 v165, v55, v54, s64                             // 000000008330: D1ED00A5 01026D37
	v_perm_b32 v166, v57, v56, s64                             // 000000008338: D1ED00A6 01027139
	v_perm_b32 v167, v59, v58, s64                             // 000000008340: D1ED00A7 0102753B
	v_perm_b32 v168, v61, v60, s64                             // 000000008348: D1ED00A8 0102793D
	v_perm_b32 v169, v63, v62, s64                             // 000000008350: D1ED00A9 01027D3F
	v_mfma_f32_16x16x16_bf16 v[96:99], v[118:119], a[90:91], v[96:99]// 000000008358: D3E10060 1582B576
	v_perm_b32 v170, v65, v64, s64                             // 000000008360: D1ED00AA 01028141
	v_perm_b32 v171, v67, v66, s64                             // 000000008368: D1ED00AB 01028543
	v_perm_b32 v172, v69, v68, s64                             // 000000008370: D1ED00AC 01028945
	v_perm_b32 v173, v71, v70, s64                             // 000000008378: D1ED00AD 01028D47
	v_perm_b32 v174, v73, v72, s64                             // 000000008380: D1ED00AE 01029149
	v_perm_b32 v175, v75, v74, s64                             // 000000008388: D1ED00AF 0102954B
	v_mfma_f32_16x16x16_bf16 v[96:99], v[120:121], a[92:93], v[96:99]// 000000008390: D3E10060 1582B978
	v_add_u32_e32 v6, s66, v6                                  // 000000008398: 680C0C42
	v_add_u32_e32 v7, s66, v7                                  // 00000000839C: 680E0E42
	v_add_u32_e32 v8, s66, v8                                  // 0000000083A0: 68101042
	v_add_u32_e32 v9, s66, v9                                  // 0000000083A4: 68121242
	v_mfma_f32_16x16x16_bf16 v[96:99], v[122:123], a[94:95], v[96:99]// 0000000083A8: D3E10060 1582BD7A
	s_waitcnt lgkmcnt(0)                                       // 0000000083B0: BF8CC07F
	s_barrier                                                  // 0000000083B4: BF8A0000
	v_mfma_f32_16x16x16_bf16 v[178:181], v[124:125], v[164:165], v[178:181]// 0000000083B8: D3E100B2 06CB497C
	v_subrev_f32_dpp v76, v176, v76 quad_perm:[0,0,0,0] row_mask:0xf bank_mask:0xf// 0000000083C0: 069898FA FF0000B0
	v_subrev_f32_dpp v77, v176, v77 quad_perm:[1,1,1,1] row_mask:0xf bank_mask:0xf// 0000000083C8: 069A9AFA FF0055B0
	v_subrev_f32_dpp v78, v176, v78 quad_perm:[2,2,2,2] row_mask:0xf bank_mask:0xf// 0000000083D0: 069C9CFA FF00AAB0
	v_subrev_f32_dpp v79, v176, v79 quad_perm:[3,3,3,3] row_mask:0xf bank_mask:0xf// 0000000083D8: 069E9EFA FF00FFB0
	v_subrev_f32_dpp v80, v176, v80 quad_perm:[0,0,0,0] row_mask:0xf bank_mask:0xf// 0000000083E0: 06A0A0FA FF0000B0
	v_subrev_f32_dpp v81, v176, v81 quad_perm:[1,1,1,1] row_mask:0xf bank_mask:0xf// 0000000083E8: 06A2A2FA FF0055B0
	v_mfma_f32_16x16x16_bf16 v[182:185], v[126:127], v[164:165], v[182:185]// 0000000083F0: D3E100B6 06DB497E
	v_subrev_f32_dpp v82, v176, v82 quad_perm:[2,2,2,2] row_mask:0xf bank_mask:0xf// 0000000083F8: 06A4A4FA FF00AAB0
	v_subrev_f32_dpp v83, v176, v83 quad_perm:[3,3,3,3] row_mask:0xf bank_mask:0xf// 000000008400: 06A6A6FA FF00FFB0
	v_subrev_f32_dpp v84, v176, v84 quad_perm:[0,0,0,0] row_mask:0xf bank_mask:0xf// 000000008408: 06A8A8FA FF0000B0
	v_subrev_f32_dpp v85, v176, v85 quad_perm:[1,1,1,1] row_mask:0xf bank_mask:0xf// 000000008410: 06AAAAFA FF0055B0
	v_subrev_f32_dpp v86, v176, v86 quad_perm:[2,2,2,2] row_mask:0xf bank_mask:0xf// 000000008418: 06ACACFA FF00AAB0
	v_subrev_f32_dpp v87, v176, v87 quad_perm:[3,3,3,3] row_mask:0xf bank_mask:0xf// 000000008420: 06AEAEFA FF00FFB0
	v_mfma_f32_16x16x16_bf16 v[186:189], v[128:129], v[164:165], v[186:189]// 000000008428: D3E100BA 06EB4980
	v_mul_f32_e32 v76, v52, v76                                // 000000008430: 0A989934
	v_mul_f32_e32 v77, v53, v77                                // 000000008434: 0A9A9B35
	v_mul_f32_e32 v78, v54, v78                                // 000000008438: 0A9C9D36
	v_mul_f32_e32 v79, v55, v79                                // 00000000843C: 0A9E9F37
	v_mul_f32_e32 v80, v56, v80                                // 000000008440: 0AA0A138
	v_mul_f32_e32 v81, v57, v81                                // 000000008444: 0AA2A339
	v_mfma_f32_16x16x16_bf16 v[190:193], v[130:131], v[164:165], v[190:193]// 000000008448: D3E100BE 06FB4982
	v_mul_f32_e32 v82, v58, v82                                // 000000008450: 0AA4A53A
	v_mul_f32_e32 v83, v59, v83                                // 000000008454: 0AA6A73B
	v_mul_f32_e32 v84, v60, v84                                // 000000008458: 0AA8A93C
	v_mul_f32_e32 v85, v61, v85                                // 00000000845C: 0AAAAB3D
	v_mul_f32_e32 v86, v62, v86                                // 000000008460: 0AACAD3E
	v_mul_f32_e32 v87, v63, v87                                // 000000008464: 0AAEAF3F
	v_mfma_f32_16x16x16_bf16 v[194:197], v[124:125], v[166:167], v[194:197]// 000000008468: D3E100C2 070B4D7C
	v_perm_b32 v76, v77, v76, s64                              // 000000008470: D1ED004C 0102994D
	v_perm_b32 v77, v79, v78, s64                              // 000000008478: D1ED004D 01029D4F
	v_perm_b32 v78, v81, v80, s64                              // 000000008480: D1ED004E 0102A151
	v_perm_b32 v79, v83, v82, s64                              // 000000008488: D1ED004F 0102A553
	v_perm_b32 v80, v85, v84, s64                              // 000000008490: D1ED0050 0102A955
	v_perm_b32 v81, v87, v86, s64                              // 000000008498: D1ED0051 0102AD57
	v_mfma_f32_16x16x16_bf16 v[198:201], v[126:127], v[166:167], v[198:201]// 0000000084A0: D3E100C6 071B4D7E
	v_mov_b32_dpp v18, v76 quad_perm:[1,0,3,2] row_mask:0xf bank_mask:0xf// 0000000084A8: 7E2402FA FF00B14C
	v_perm_b32 v52, v18, v76, v17                              // 0000000084B0: D1ED0034 04469912
	v_mov_b32_dpp v18, v77 quad_perm:[1,0,3,2] row_mask:0xf bank_mask:0xf// 0000000084B8: 7E2402FA FF00B14D
	v_perm_b32 v53, v18, v77, v17                              // 0000000084C0: D1ED0035 04469B12
	v_mov_b32_dpp v18, v78 quad_perm:[1,0,3,2] row_mask:0xf bank_mask:0xf// 0000000084C8: 7E2402FA FF00B14E
	v_perm_b32 v54, v18, v78, v17                              // 0000000084D0: D1ED0036 04469D12
	v_mfma_f32_16x16x16_bf16 v[202:205], v[128:129], v[166:167], v[202:205]// 0000000084D8: D3E100CA 072B4D80
	ds_write_b32 v20, v52 offset:17408                         // 0000000084E0: D81A4400 00003414
	ds_write_b32 v20, v53 offset:17952                         // 0000000084E8: D81A4620 00003514
	v_mfma_f32_16x16x16_bf16 v[206:209], v[130:131], v[166:167], v[206:209]// 0000000084F0: D3E100CE 073B4D82
	v_mov_b32_dpp v18, v79 quad_perm:[1,0,3,2] row_mask:0xf bank_mask:0xf// 0000000084F8: 7E2402FA FF00B14F
	v_perm_b32 v55, v18, v79, v17                              // 000000008500: D1ED0037 04469F12
	v_mov_b32_dpp v18, v80 quad_perm:[1,0,3,2] row_mask:0xf bank_mask:0xf// 000000008508: 7E2402FA FF00B150
	v_perm_b32 v56, v18, v80, v17                              // 000000008510: D1ED0038 0446A112
	v_mov_b32_dpp v18, v81 quad_perm:[1,0,3,2] row_mask:0xf bank_mask:0xf// 000000008518: 7E2402FA FF00B151
	v_perm_b32 v57, v18, v81, v17                              // 000000008520: D1ED0039 0446A312
	v_mfma_f32_16x16x16_bf16 v[210:213], v[124:125], v[168:169], v[210:213]// 000000008528: D3E100D2 074B517C
	ds_write_b32 v20, v54 offset:19712                         // 000000008530: D81A4D00 00003614
	ds_write_b32 v20, v55 offset:20256                         // 000000008538: D81A4F20 00003714
	v_mfma_f32_16x16x16_bf16 v[214:217], v[126:127], v[168:169], v[214:217]// 000000008540: D3E100D6 075B517E
	v_subrev_f32_dpp v88, v177, v88 quad_perm:[0,0,0,0] row_mask:0xf bank_mask:0xf// 000000008548: 06B0B0FA FF0000B1
	v_subrev_f32_dpp v89, v177, v89 quad_perm:[1,1,1,1] row_mask:0xf bank_mask:0xf// 000000008550: 06B2B2FA FF0055B1
	v_subrev_f32_dpp v90, v177, v90 quad_perm:[2,2,2,2] row_mask:0xf bank_mask:0xf// 000000008558: 06B4B4FA FF00AAB1
	v_subrev_f32_dpp v91, v177, v91 quad_perm:[3,3,3,3] row_mask:0xf bank_mask:0xf// 000000008560: 06B6B6FA FF00FFB1
	v_subrev_f32_dpp v92, v177, v92 quad_perm:[0,0,0,0] row_mask:0xf bank_mask:0xf// 000000008568: 06B8B8FA FF0000B1
	v_subrev_f32_dpp v93, v177, v93 quad_perm:[1,1,1,1] row_mask:0xf bank_mask:0xf// 000000008570: 06BABAFA FF0055B1
	v_mfma_f32_16x16x16_bf16 v[218:221], v[128:129], v[168:169], v[218:221]// 000000008578: D3E100DA 076B5180
	ds_write_b32 v20, v56 offset:22016                         // 000000008580: D81A5600 00003814
	ds_write_b32 v20, v57 offset:22560                         // 000000008588: D81A5820 00003914
	v_mfma_f32_16x16x16_bf16 v[222:225], v[130:131], v[168:169], v[222:225]// 000000008590: D3E100DE 077B5182
	v_subrev_f32_dpp v94, v177, v94 quad_perm:[2,2,2,2] row_mask:0xf bank_mask:0xf// 000000008598: 06BCBCFA FF00AAB1
	v_subrev_f32_dpp v95, v177, v95 quad_perm:[3,3,3,3] row_mask:0xf bank_mask:0xf// 0000000085A0: 06BEBEFA FF00FFB1
	v_subrev_f32_dpp v96, v177, v96 quad_perm:[0,0,0,0] row_mask:0xf bank_mask:0xf// 0000000085A8: 06C0C0FA FF0000B1
	v_subrev_f32_dpp v97, v177, v97 quad_perm:[1,1,1,1] row_mask:0xf bank_mask:0xf// 0000000085B0: 06C2C2FA FF0055B1
	v_subrev_f32_dpp v98, v177, v98 quad_perm:[2,2,2,2] row_mask:0xf bank_mask:0xf// 0000000085B8: 06C4C4FA FF00AAB1
	v_subrev_f32_dpp v99, v177, v99 quad_perm:[3,3,3,3] row_mask:0xf bank_mask:0xf// 0000000085C0: 06C6C6FA FF00FFB1
	v_mfma_f32_16x16x16_bf16 v[178:181], v[132:133], v[170:171], v[178:181]// 0000000085C8: D3E100B2 06CB5584
	v_mul_f32_e32 v88, v64, v88                                // 0000000085D0: 0AB0B140
	v_mul_f32_e32 v89, v65, v89                                // 0000000085D4: 0AB2B341
	v_mul_f32_e32 v90, v66, v90                                // 0000000085D8: 0AB4B542
	v_mul_f32_e32 v91, v67, v91                                // 0000000085DC: 0AB6B743
	v_mul_f32_e32 v92, v68, v92                                // 0000000085E0: 0AB8B944
	v_mul_f32_e32 v93, v69, v93                                // 0000000085E4: 0ABABB45
	v_mfma_f32_16x16x16_bf16 v[182:185], v[134:135], v[170:171], v[182:185]// 0000000085E8: D3E100B6 06DB5586
	v_mul_f32_e32 v94, v70, v94                                // 0000000085F0: 0ABCBD46
	v_mul_f32_e32 v95, v71, v95                                // 0000000085F4: 0ABEBF47
	v_mul_f32_e32 v96, v72, v96                                // 0000000085F8: 0AC0C148
	v_mul_f32_e32 v97, v73, v97                                // 0000000085FC: 0AC2C349
	v_mul_f32_e32 v98, v74, v98                                // 000000008600: 0AC4C54A
	v_mul_f32_e32 v99, v75, v99                                // 000000008604: 0AC6C74B
	v_mfma_f32_16x16x16_bf16 v[186:189], v[136:137], v[170:171], v[186:189]// 000000008608: D3E100BA 06EB5588
	v_perm_b32 v82, v89, v88, s64                              // 000000008610: D1ED0052 0102B159
	v_perm_b32 v83, v91, v90, s64                              // 000000008618: D1ED0053 0102B55B
	v_perm_b32 v84, v93, v92, s64                              // 000000008620: D1ED0054 0102B95D
	v_perm_b32 v85, v95, v94, s64                              // 000000008628: D1ED0055 0102BD5F
	v_perm_b32 v86, v97, v96, s64                              // 000000008630: D1ED0056 0102C161
	v_perm_b32 v87, v99, v98, s64                              // 000000008638: D1ED0057 0102C563
	v_mfma_f32_16x16x16_bf16 v[190:193], v[138:139], v[170:171], v[190:193]// 000000008640: D3E100BE 06FB558A
	v_mov_b32_dpp v18, v82 quad_perm:[1,0,3,2] row_mask:0xf bank_mask:0xf// 000000008648: 7E2402FA FF00B152
	v_perm_b32 v58, v18, v82, v17                              // 000000008650: D1ED003A 0446A512
	v_mov_b32_dpp v18, v83 quad_perm:[1,0,3,2] row_mask:0xf bank_mask:0xf// 000000008658: 7E2402FA FF00B153
	v_perm_b32 v59, v18, v83, v17                              // 000000008660: D1ED003B 0446A712
	v_mov_b32_dpp v18, v84 quad_perm:[1,0,3,2] row_mask:0xf bank_mask:0xf// 000000008668: 7E2402FA FF00B154
	v_perm_b32 v60, v18, v84, v17                              // 000000008670: D1ED003C 0446A912
	v_mfma_f32_16x16x16_bf16 v[194:197], v[132:133], v[172:173], v[194:197]// 000000008678: D3E100C2 070B5984
	ds_write_b32 v20, v58 offset:24320                         // 000000008680: D81A5F00 00003A14
	ds_write_b32 v20, v59 offset:24864                         // 000000008688: D81A6120 00003B14
	v_mfma_f32_16x16x16_bf16 v[198:201], v[134:135], v[172:173], v[198:201]// 000000008690: D3E100C6 071B5986
	v_mov_b32_dpp v18, v85 quad_perm:[1,0,3,2] row_mask:0xf bank_mask:0xf// 000000008698: 7E2402FA FF00B155
	v_perm_b32 v61, v18, v85, v17                              // 0000000086A0: D1ED003D 0446AB12
	v_mov_b32_dpp v18, v86 quad_perm:[1,0,3,2] row_mask:0xf bank_mask:0xf// 0000000086A8: 7E2402FA FF00B156
	v_perm_b32 v62, v18, v86, v17                              // 0000000086B0: D1ED003E 0446AD12
	v_mov_b32_dpp v18, v87 quad_perm:[1,0,3,2] row_mask:0xf bank_mask:0xf// 0000000086B8: 7E2402FA FF00B157
	v_perm_b32 v63, v18, v87, v17                              // 0000000086C0: D1ED003F 0446AF12
	v_mfma_f32_16x16x16_bf16 v[202:205], v[136:137], v[172:173], v[202:205]// 0000000086C8: D3E100CA 072B5988
	ds_write_b32 v20, v60 offset:26624                         // 0000000086D0: D81A6800 00003C14
	ds_write_b32 v20, v61 offset:27168                         // 0000000086D8: D81A6A20 00003D14
	ds_write_b32 v20, v62 offset:28928                         // 0000000086E0: D81A7100 00003E14
	ds_write_b32 v20, v63 offset:29472                         // 0000000086E8: D81A7320 00003F14
	v_mfma_f32_16x16x16_bf16 v[206:209], v[138:139], v[172:173], v[206:209]// 0000000086F0: D3E100CE 073B598A
	v_mfma_f32_16x16x16_bf16 v[210:213], v[132:133], v[174:175], v[210:213]// 0000000086F8: D3E100D2 074B5D84
	ds_write_b32 v15, v100 offset:4352                         // 000000008700: D81A1100 0000640F
	ds_write_b32 v15, v101 offset:5408                         // 000000008708: D81A1520 0000650F
	v_mfma_f32_16x16x16_bf16 v[214:217], v[134:135], v[174:175], v[214:217]// 000000008710: D3E100D6 075B5D86
	v_mfma_f32_16x16x16_bf16 v[218:221], v[136:137], v[174:175], v[218:221]// 000000008718: D3E100DA 076B5D88
	ds_write_b32 v15, v102 offset:6528                         // 000000008720: D81A1980 0000660F
	ds_write_b32 v15, v103 offset:7584                         // 000000008728: D81A1DA0 0000670F
	v_mfma_f32_16x16x16_bf16 v[222:225], v[138:139], v[174:175], v[222:225]// 000000008730: D3E100DE 077B5D8A
	s_nop 0                                                    // 000000008738: BF800000
	s_nop 0                                                    // 00000000873C: BF800000
	s_nop 0                                                    // 000000008740: BF800000
	s_barrier                                                  // 000000008744: BF8A0000
	v_mfma_f32_16x16x16_bf16 a[112:115], a[96:97], v[76:77], a[112:115]// 000000008748: D3E18070 0DC29960
	ds_read_b32 v140, v23 offset:39424                         // 000000008750: D86C9A00 8C000017
	ds_read_b32 v144, v23 offset:39488                         // 000000008758: D86C9A40 90000017
	ds_read_b32 v176, v23 offset:39680                         // 000000008760: D86C9B00 B0000017
	ds_read_b32 v177, v23 offset:39744                         // 000000008768: D86C9B40 B1000017
	v_mfma_f32_16x16x16_bf16 a[116:119], a[98:99], v[76:77], a[116:119]// 000000008770: D3E18074 0DD29962
	buffer_atomic_add_f32 v156, v6, s[32:35], 0 idxen          // 000000008778: E1342000 80089C06
	v_mfma_f32_16x16x16_bf16 a[120:123], a[100:101], v[76:77], a[120:123]// 000000008780: D3E18078 0DE29964
	s_waitcnt lgkmcnt(8)                                       // 000000008788: BF8CC87F
	s_barrier                                                  // 00000000878C: BF8A0000
	v_mfma_f32_16x16x16_bf16 a[124:127], a[102:103], v[76:77], a[124:127]// 000000008790: D3E1807C 0DF29966
	v_mfma_f32_16x16x16_bf16 a[128:131], a[96:97], v[78:79], a[128:131]// 000000008798: D3E18080 0E029D60
	ds_read_b128 v[52:55], v19 offset:17408                    // 0000000087A0: D9FE4400 34000013
	v_mfma_f32_16x16x16_bf16 a[132:135], a[98:99], v[78:79], a[132:135]// 0000000087A8: D3E18084 0E129D62
	v_mfma_f32_16x16x16_bf16 a[136:139], a[100:101], v[78:79], a[136:139]// 0000000087B0: D3E18088 0E229D64
	ds_read_b128 v[56:59], v19 offset:18560                    // 0000000087B8: D9FE4880 38000013
	v_mfma_f32_16x16x16_bf16 a[140:143], a[102:103], v[78:79], a[140:143]// 0000000087C0: D3E1808C 0E329D66
	buffer_atomic_add_f32 v157, v7, s[32:35], 0 idxen          // 0000000087C8: E1342000 80089D07
	v_mfma_f32_16x16x16_bf16 a[144:147], a[96:97], v[80:81], a[144:147]// 0000000087D0: D3E18090 0E42A160
	ds_read_b128 v[60:63], v19 offset:19712                    // 0000000087D8: D9FE4D00 3C000013
	v_mfma_f32_16x16x16_bf16 a[148:151], a[98:99], v[80:81], a[148:151]// 0000000087E0: D3E18094 0E52A162
	v_mfma_f32_16x16x16_bf16 a[152:155], a[100:101], v[80:81], a[152:155]// 0000000087E8: D3E18098 0E62A164
	ds_read_b128 v[64:67], v19 offset:20864                    // 0000000087F0: D9FE5180 40000013
	v_mfma_f32_16x16x16_bf16 a[156:159], a[102:103], v[80:81], a[156:159]// 0000000087F8: D3E1809C 0E72A166
	v_mfma_f32_16x16x16_bf16 a[112:115], a[104:105], v[82:83], a[112:115]// 000000008800: D3E18070 0DC2A568
	ds_read_b128 v[68:71], v19 offset:22016                    // 000000008808: D9FE5600 44000013
	v_mfma_f32_16x16x16_bf16 a[116:119], a[106:107], v[82:83], a[116:119]// 000000008810: D3E18074 0DD2A56A
	buffer_atomic_add_f32 v158, v6, s[32:35], 0 idxen offset:128// 000000008818: E1342080 80089E06
	v_mfma_f32_16x16x16_bf16 a[120:123], a[108:109], v[82:83], a[120:123]// 000000008820: D3E18078 0DE2A56C
	ds_read_b128 v[72:75], v19 offset:23168                    // 000000008828: D9FE5A80 48000013
	v_mfma_f32_16x16x16_bf16 a[124:127], a[110:111], v[82:83], a[124:127]// 000000008830: D3E1807C 0DF2A56E
	v_mfma_f32_16x16x16_bf16 a[128:131], a[104:105], v[84:85], a[128:131]// 000000008838: D3E18080 0E02A968
	ds_write_b32 v15, v104 offset:13056                        // 000000008840: D81A3300 0000680F
	v_mfma_f32_16x16x16_bf16 a[132:135], a[106:107], v[84:85], a[132:135]// 000000008848: D3E18084 0E12A96A
	v_mfma_f32_16x16x16_bf16 a[136:139], a[108:109], v[84:85], a[136:139]// 000000008850: D3E18088 0E22A96C
	ds_write_b32 v15, v105 offset:14112                        // 000000008858: D81A3720 0000690F
	v_mfma_f32_16x16x16_bf16 a[140:143], a[110:111], v[84:85], a[140:143]// 000000008860: D3E1808C 0E32A96E
	buffer_atomic_add_f32 v159, v7, s[32:35], 0 idxen offset:128// 000000008868: E1342080 80089F07
	v_mfma_f32_16x16x16_bf16 a[144:147], a[104:105], v[86:87], a[144:147]// 000000008870: D3E18090 0E42AD68
	ds_write_b32 v15, v106 offset:15232                        // 000000008878: D81A3B80 00006A0F
	v_mfma_f32_16x16x16_bf16 a[148:151], a[106:107], v[86:87], a[148:151]// 000000008880: D3E18094 0E52AD6A
	v_mfma_f32_16x16x16_bf16 a[152:155], a[108:109], v[86:87], a[152:155]// 000000008888: D3E18098 0E62AD6C
	ds_write_b32 v15, v107 offset:16288                        // 000000008890: D81A3FA0 00006B0F
	v_mfma_f32_16x16x16_bf16 a[156:159], a[110:111], v[86:87], a[156:159]// 000000008898: D3E1809C 0E72AD6E
	s_waitcnt vmcnt(8) lgkmcnt(4)                              // 0000000088A0: BF8C0478
	s_barrier                                                  // 0000000088A4: BF8A0000
	v_mfma_f32_16x16x16_bf16 v[148:151], v[52:53], a[24:25], 0 // 0000000088A8: D3E10094 12023134
	ds_read_b128 a[96:99], v12                                 // 0000000088B0: DBFE0000 6000000C
	buffer_load_dword v36, v1, s[8:11], 0 idxen                // 0000000088B8: E0502000 80022401
	v_mfma_f32_16x16x16_bf16 v[148:151], v[54:55], a[28:29], v[148:151]// 0000000088C0: D3E10094 16523936
	v_mul_f32_e32 v140, s48, v140                              // 0000000088C8: 0B191830
	v_mul_f32_e32 v144, s48, v144                              // 0000000088CC: 0B212030
	s_nop 0                                                    // 0000000088D0: BF800000
	v_mfma_f32_16x16x16_bf16 v[148:151], v[56:57], a[32:33], v[148:151]// 0000000088D4: D3E10094 16524138
	ds_read_b128 a[100:103], v12 offset:512                    // 0000000088DC: DBFE0200 6400000C
	buffer_load_dword v37, v2, s[8:11], 0 idxen                // 0000000088E4: E0502000 80022502
	v_mfma_f32_16x16x16_bf16 v[148:151], v[58:59], a[36:37], v[148:151]// 0000000088EC: D3E10094 1652493A
	v_mfma_f32_16x16x16_bf16 v[148:151], v[60:61], a[40:41], v[148:151]// 0000000088F4: D3E10094 1652513C
	ds_read_b128 a[104:107], v12 offset:2176                   // 0000000088FC: DBFE0880 6800000C
	buffer_load_dword v38, v3, s[8:11], 0 idxen                // 000000008904: E0502000 80022603
	v_mfma_f32_16x16x16_bf16 v[148:151], v[62:63], a[44:45], v[148:151]// 00000000890C: D3E10094 1652593E
	v_perm_b32 v100, v41, v40, s63                             // 000000008914: D1ED0064 00FE5129
	v_perm_b32 v101, v41, v40, s64                             // 00000000891C: D1ED0065 01025129
	v_mfma_f32_16x16x16_bf16 v[148:151], v[64:65], a[48:49], v[148:151]// 000000008924: D3E10094 16526140
	ds_read_b128 a[108:111], v12 offset:2688                   // 00000000892C: DBFE0A80 6C00000C
	buffer_load_dword v39, v4, s[8:11], 0 idxen                // 000000008934: E0502000 80022704
	v_mfma_f32_16x16x16_bf16 v[148:151], v[66:67], a[52:53], v[148:151]// 00000000893C: D3E10094 16526942
	v_perm_b32 v102, v43, v42, s63                             // 000000008944: D1ED0066 00FE552B
	v_perm_b32 v103, v43, v42, s64                             // 00000000894C: D1ED0067 0102552B
	v_mfma_f32_16x16x16_bf16 v[148:151], v[68:69], a[56:57], v[148:151]// 000000008954: D3E10094 16527144
	ds_read_b128 v[108:111], v12 offset:8704                   // 00000000895C: D9FE2200 6C00000C
	buffer_load_dword v44, v231, s[20:23], 0 idxen             // 000000008964: E0502000 80052CE7
	v_mfma_f32_16x16x16_bf16 v[148:151], v[70:71], a[60:61], v[148:151]// 00000000896C: D3E10094 16527946
	v_perm_b32 v104, v49, v48, s63                             // 000000008974: D1ED0068 00FE6131
	v_perm_b32 v105, v49, v48, s64                             // 00000000897C: D1ED0069 01026131
	v_mfma_f32_16x16x16_bf16 v[148:151], v[72:73], a[64:65], v[148:151]// 000000008984: D3E10094 16528148
	ds_read_b128 v[112:115], v12 offset:9216                   // 00000000898C: D9FE2400 7000000C
	buffer_load_dword v45, v232, s[20:23], 0 idxen             // 000000008994: E0502000 80052DE8
	v_mfma_f32_16x16x16_bf16 v[148:151], v[74:75], a[68:69], v[148:151]// 00000000899C: D3E10094 1652894A
	v_perm_b32 v106, v51, v50, s63                             // 0000000089A4: D1ED006A 00FE6533
	v_perm_b32 v107, v51, v50, s64                             // 0000000089AC: D1ED006B 01026533
	v_mfma_f32_16x16x16_bf16 v[152:155], v[52:53], a[26:27], 0 // 0000000089B4: D3E10098 12023534
	ds_read_b128 v[116:119], v12 offset:10880                  // 0000000089BC: D9FE2A80 7400000C
	buffer_load_dword v46, v233, s[20:23], 0 idxen             // 0000000089C4: E0502000 80052EE9
	v_mfma_f32_16x16x16_bf16 v[152:155], v[54:55], a[30:31], v[152:155]// 0000000089CC: D3E10098 16623D36
	v_mov_b32_dpp v143, v140 quad_perm:[3,3,3,3] row_mask:0xf bank_mask:0xf// 0000000089D4: 7F1E02FA FF00FF8C
	v_mov_b32_dpp v142, v140 quad_perm:[2,2,2,2] row_mask:0xf bank_mask:0xf// 0000000089DC: 7F1C02FA FF00AA8C
	v_mov_b32_dpp v141, v140 quad_perm:[1,1,1,1] row_mask:0xf bank_mask:0xf// 0000000089E4: 7F1A02FA FF00558C
	v_mov_b32_dpp v140, v140 quad_perm:[0,0,0,0] row_mask:0xf bank_mask:0xf// 0000000089EC: 7F1802FA FF00008C
	v_mfma_f32_16x16x16_bf16 v[152:155], v[56:57], a[34:35], v[152:155]// 0000000089F4: D3E10098 16624538
	ds_read_b128 v[120:123], v12 offset:11392                  // 0000000089FC: D9FE2C80 7800000C
	buffer_load_dword v47, v234, s[20:23], 0 idxen             // 000000008A04: E0502000 80052FEA
	v_mfma_f32_16x16x16_bf16 v[152:155], v[58:59], a[38:39], v[152:155]// 000000008A0C: D3E10098 16624D3A
	v_mov_b32_dpp v147, v144 quad_perm:[3,3,3,3] row_mask:0xf bank_mask:0xf// 000000008A14: 7F2602FA FF00FF90
	v_mov_b32_dpp v146, v144 quad_perm:[2,2,2,2] row_mask:0xf bank_mask:0xf// 000000008A1C: 7F2402FA FF00AA90
	v_mov_b32_dpp v145, v144 quad_perm:[1,1,1,1] row_mask:0xf bank_mask:0xf// 000000008A24: 7F2202FA FF005590
	v_mov_b32_dpp v144, v144 quad_perm:[0,0,0,0] row_mask:0xf bank_mask:0xf// 000000008A2C: 7F2002FA FF000090
	s_add_u32 s60, 0x80, s59                                   // 000000008A34: 803C3BFF 00000080
	v_mfma_f32_16x16x16_bf16 v[152:155], v[60:61], a[42:43], v[152:155]// 000000008A3C: D3E10098 1662553C
	buffer_load_dword v11, s[24:27], 0 idxen lds               // 000000008A44: E0512000 8006000B
	v_mfma_f32_16x16x16_bf16 v[152:155], v[62:63], a[46:47], v[152:155]// 000000008A4C: D3E10098 16625D3E
	s_cmp_lt_u32 s60, s58                                      // 000000008A54: BF0A3A3C
	s_cselect_b32 s68, s68, 0                                  // 000000008A58: 85448044
	s_cselect_b32 s81, s81, 0                                  // 000000008A5C: 85518051
	s_cselect_b32 s69, s69, 0                                  // 000000008A60: 85458045
	v_mfma_f32_16x16x16_bf16 v[152:155], v[64:65], a[50:51], v[152:155]// 000000008A64: D3E10098 16626540
	v_add_u32_e32 v1, s68, v1                                  // 000000008A6C: 68020244
	v_add_u32_e32 v2, s68, v2                                  // 000000008A70: 68040444
	v_add_u32_e32 v3, s68, v3                                  // 000000008A74: 68060644
	v_add_u32_e32 v4, s68, v4                                  // 000000008A78: 68080844
	v_mfma_f32_16x16x16_bf16 v[152:155], v[66:67], a[54:55], v[152:155]// 000000008A7C: D3E10098 16626D42
	v_add_u32_e32 v231, s81, v231                              // 000000008A84: 69CFCE51
	v_add_u32_e32 v232, s81, v232                              // 000000008A88: 69D1D051
	v_add_u32_e32 v233, s81, v233                              // 000000008A8C: 69D3D251
	v_add_u32_e32 v234, s81, v234                              // 000000008A90: 69D5D451
	v_mfma_f32_16x16x16_bf16 v[152:155], v[68:69], a[58:59], v[152:155]// 000000008A94: D3E10098 16627544
	s_mov_b32 m0, s77                                          // 000000008A9C: BEFC004D
	v_add_u32_e32 v11, s69, v11                                // 000000008AA0: 68161645
	v_mfma_f32_16x16x16_bf16 v[152:155], v[70:71], a[62:63], v[152:155]// 000000008AA4: D3E10098 16627D46
	s_cmp_ge_u32 s59, 32                                       // 000000008AAC: BF09A03B
	s_cselect_b32 s66, s67, s66                                // 000000008AB0: 85424243
	v_mfma_f32_16x16x16_bf16 v[152:155], v[72:73], a[66:67], v[152:155]// 000000008AB4: D3E10098 16628548
	s_addk_i32 s59, 0x20                                       // 000000008ABC: B73B0020
	s_nop 0                                                    // 000000008AC0: BF800000
	s_cmp_lt_i32 s59, s58                                      // 000000008AC4: BF043A3B
	v_mfma_f32_16x16x16_bf16 v[152:155], v[74:75], a[70:71], v[152:155]// 000000008AC8: D3E10098 16628D4A
	s_cbranch_scc0 label_0CC2                                  // 000000008AD0: BF84F97B
	s_branch label_0CC5                                        // 000000008AD4: BF82F97D

0000000000008ad8 <label_135A>:
	buffer_atomic_add_f32 v160, v8, s[32:35], 0 idxen          // 000000008AD8: E1342000 8008A008
	buffer_atomic_add_f32 v161, v9, s[32:35], 0 idxen          // 000000008AE0: E1342000 8008A109
	buffer_atomic_add_f32 v162, v8, s[32:35], 0 idxen offset:128// 000000008AE8: E1342080 8008A208
	buffer_atomic_add_f32 v163, v9, s[32:35], 0 idxen offset:128// 000000008AF0: E1342080 8008A309
	v_add_u32_e32 v6, s66, v6                                  // 000000008AF8: 680C0C42
	v_add_u32_e32 v7, s66, v7                                  // 000000008AFC: 680E0E42
	v_add_u32_e32 v8, s66, v8                                  // 000000008B00: 68101042
	v_add_u32_e32 v9, s66, v9                                  // 000000008B04: 68121242
	v_lshrrev_b32_e32 v32, 5, v0                               // 000000008B08: 20400085
	v_mul_i32_i24_e32 v27, 0x44, v32                           // 000000008B0C: 0C3640FF 00000044
	v_and_b32_e32 v32, 31, v0                                  // 000000008B14: 2640009F
	v_mul_i32_i24_e32 v33, 2, v32                              // 000000008B18: 0C424082
	v_add_u32_e32 v27, v33, v27                                // 000000008B1C: 68363721
	s_mul_i32 s60, s46, 0x220                                  // 000000008B20: 923CFF2E 00000220
	v_add_u32_e32 v27, s60, v27                                // 000000008B28: 6836363C
	v_lshlrev_b32_e32 v27, 2, v27                              // 000000008B2C: 24363682
	v_mul_f32_e32 v148, s47, v148                              // 000000008B30: 0B29282F
	v_mul_f32_e32 v149, s47, v149                              // 000000008B34: 0B2B2A2F
	v_mul_f32_e32 v150, s47, v150                              // 000000008B38: 0B2D2C2F
	v_mul_f32_e32 v151, s47, v151                              // 000000008B3C: 0B2F2E2F
	v_mul_f32_e32 v152, s47, v152                              // 000000008B40: 0B31302F
	v_mul_f32_e32 v153, s47, v153                              // 000000008B44: 0B33322F
	v_mul_f32_e32 v154, s47, v154                              // 000000008B48: 0B35342F
	v_mul_f32_e32 v155, s47, v155                              // 000000008B4C: 0B37362F
	ds_write_b64 v22, v[148:149] offset:31232                  // 000000008B50: D89A7A00 00009416
	ds_write_b64 v22, v[150:151] offset:31744                  // 000000008B58: D89A7C00 00009616
	ds_write_b64 v22, v[152:153] offset:32256                  // 000000008B60: D89A7E00 00009816
	ds_write_b64 v22, v[154:155] offset:32768                  // 000000008B68: D89A8000 00009A16
	s_waitcnt lgkmcnt(0)                                       // 000000008B70: BF8CC07F
	s_barrier                                                  // 000000008B74: BF8A0000
	ds_read_b64 v[156:157], v21 offset:31232                   // 000000008B78: D8EC7A00 9C000015
	ds_read_b64 v[158:159], v21 offset:33280                   // 000000008B80: D8EC8200 9E000015
	ds_read_b64 v[160:161], v21 offset:35328                   // 000000008B88: D8EC8A00 A0000015
	ds_read_b64 v[162:163], v21 offset:37376                   // 000000008B90: D8EC9200 A2000015
	s_waitcnt lgkmcnt(0)                                       // 000000008B98: BF8CC07F
	s_barrier                                                  // 000000008B9C: BF8A0000
	buffer_atomic_add_f32 v156, v6, s[32:35], 0 idxen          // 000000008BA0: E1342000 80089C06
	buffer_atomic_add_f32 v157, v7, s[32:35], 0 idxen          // 000000008BA8: E1342000 80089D07
	buffer_atomic_add_f32 v158, v6, s[32:35], 0 idxen offset:128// 000000008BB0: E1342080 80089E06
	buffer_atomic_add_f32 v159, v7, s[32:35], 0 idxen offset:128// 000000008BB8: E1342080 80089F07
	buffer_atomic_add_f32 v160, v8, s[32:35], 0 idxen          // 000000008BC0: E1342000 8008A008
	buffer_atomic_add_f32 v161, v9, s[32:35], 0 idxen          // 000000008BC8: E1342000 8008A109
	buffer_atomic_add_f32 v162, v8, s[32:35], 0 idxen offset:128// 000000008BD0: E1342080 8008A208
	buffer_atomic_add_f32 v163, v9, s[32:35], 0 idxen offset:128// 000000008BD8: E1342080 8008A309
	v_lshrrev_b32_e32 v32, 3, v0                               // 000000008BE0: 20400083
	v_mul_i32_i24_e32 v26, 2, v32                              // 000000008BE4: 0C344082
	v_and_b32_e32 v32, 7, v0                                   // 000000008BE8: 26400087
	v_mul_i32_i24_e32 v33, 0x44, v32                           // 000000008BEC: 0C4240FF 00000044
	v_add_u32_e32 v26, v33, v26                                // 000000008BF4: 68343521
	s_mul_i32 s60, s46, 0x220                                  // 000000008BF8: 923CFF2E 00000220
	v_add_u32_e32 v26, s60, v26                                // 000000008C00: 6834343C
	v_lshlrev_b32_e32 v26, 2, v26                              // 000000008C04: 24343482
	v_accvgpr_read_b32 v34, a112                               // 000000008C08: D3D84022 18000170
	v_accvgpr_read_b32 v35, a113                               // 000000008C10: D3D84023 18000171
	v_mul_f32_e32 v34, s47, v34                                // 000000008C18: 0A44442F
	v_mul_f32_e32 v35, s47, v35                                // 000000008C1C: 0A46462F
	v_cmp_u_f32_e64 s[74:75], v34, v34                         // 000000008C20: D048004A 00024522
	v_bfe_u32 v226, v34, 16, 1                                 // 000000008C28: D1C800E2 02052122
	v_add3_u32 v226, v34, v226, v229                           // 000000008C30: D1FF00E2 0797C522
	v_cndmask_b32_e64 v32, v226, v228, s[74:75]                // 000000008C38: D1000020 012BC9E2
	v_lshrrev_b32_e32 v32, 16, v32                             // 000000008C40: 20404090
	v_cmp_u_f32_e64 s[74:75], v35, v35                         // 000000008C44: D048004A 00024723
	v_bfe_u32 v226, v35, 16, 1                                 // 000000008C4C: D1C800E2 02052123
	v_add3_u32 v226, v35, v226, v229                           // 000000008C54: D1FF00E2 0797C523
	v_cndmask_b32_e64 v33, v226, v228, s[74:75]                // 000000008C5C: D1000021 012BC9E2
	v_and_or_b32 v52, v33, v227, v32                           // 000000008C64: D2010034 0483C721
	v_accvgpr_read_b32 v34, a114                               // 000000008C6C: D3D84022 18000172
	v_accvgpr_read_b32 v35, a115                               // 000000008C74: D3D84023 18000173
	v_mul_f32_e32 v34, s47, v34                                // 000000008C7C: 0A44442F
	v_mul_f32_e32 v35, s47, v35                                // 000000008C80: 0A46462F
	v_cmp_u_f32_e64 s[74:75], v34, v34                         // 000000008C84: D048004A 00024522
	v_bfe_u32 v226, v34, 16, 1                                 // 000000008C8C: D1C800E2 02052122
	v_add3_u32 v226, v34, v226, v229                           // 000000008C94: D1FF00E2 0797C522
	v_cndmask_b32_e64 v32, v226, v228, s[74:75]                // 000000008C9C: D1000020 012BC9E2
	v_lshrrev_b32_e32 v32, 16, v32                             // 000000008CA4: 20404090
	v_cmp_u_f32_e64 s[74:75], v35, v35                         // 000000008CA8: D048004A 00024723
	v_bfe_u32 v226, v35, 16, 1                                 // 000000008CB0: D1C800E2 02052123
	v_add3_u32 v226, v35, v226, v229                           // 000000008CB8: D1FF00E2 0797C523
	v_cndmask_b32_e64 v33, v226, v228, s[74:75]                // 000000008CC0: D1000021 012BC9E2
	v_and_or_b32 v53, v33, v227, v32                           // 000000008CC8: D2010035 0483C721
	v_accvgpr_read_b32 v34, a116                               // 000000008CD0: D3D84022 18000174
	v_accvgpr_read_b32 v35, a117                               // 000000008CD8: D3D84023 18000175
	v_mul_f32_e32 v34, s47, v34                                // 000000008CE0: 0A44442F
	v_mul_f32_e32 v35, s47, v35                                // 000000008CE4: 0A46462F
	v_cmp_u_f32_e64 s[74:75], v34, v34                         // 000000008CE8: D048004A 00024522
	v_bfe_u32 v226, v34, 16, 1                                 // 000000008CF0: D1C800E2 02052122
	v_add3_u32 v226, v34, v226, v229                           // 000000008CF8: D1FF00E2 0797C522
	v_cndmask_b32_e64 v32, v226, v228, s[74:75]                // 000000008D00: D1000020 012BC9E2
	v_lshrrev_b32_e32 v32, 16, v32                             // 000000008D08: 20404090
	v_cmp_u_f32_e64 s[74:75], v35, v35                         // 000000008D0C: D048004A 00024723
	v_bfe_u32 v226, v35, 16, 1                                 // 000000008D14: D1C800E2 02052123
	v_add3_u32 v226, v35, v226, v229                           // 000000008D1C: D1FF00E2 0797C523
	v_cndmask_b32_e64 v33, v226, v228, s[74:75]                // 000000008D24: D1000021 012BC9E2
	v_and_or_b32 v54, v33, v227, v32                           // 000000008D2C: D2010036 0483C721
	v_accvgpr_read_b32 v34, a118                               // 000000008D34: D3D84022 18000176
	v_accvgpr_read_b32 v35, a119                               // 000000008D3C: D3D84023 18000177
	v_mul_f32_e32 v34, s47, v34                                // 000000008D44: 0A44442F
	v_mul_f32_e32 v35, s47, v35                                // 000000008D48: 0A46462F
	v_cmp_u_f32_e64 s[74:75], v34, v34                         // 000000008D4C: D048004A 00024522
	v_bfe_u32 v226, v34, 16, 1                                 // 000000008D54: D1C800E2 02052122
	v_add3_u32 v226, v34, v226, v229                           // 000000008D5C: D1FF00E2 0797C522
	v_cndmask_b32_e64 v32, v226, v228, s[74:75]                // 000000008D64: D1000020 012BC9E2
	v_lshrrev_b32_e32 v32, 16, v32                             // 000000008D6C: 20404090
	v_cmp_u_f32_e64 s[74:75], v35, v35                         // 000000008D70: D048004A 00024723
	v_bfe_u32 v226, v35, 16, 1                                 // 000000008D78: D1C800E2 02052123
	v_add3_u32 v226, v35, v226, v229                           // 000000008D80: D1FF00E2 0797C523
	v_cndmask_b32_e64 v33, v226, v228, s[74:75]                // 000000008D88: D1000021 012BC9E2
	v_and_or_b32 v55, v33, v227, v32                           // 000000008D90: D2010037 0483C721
	v_accvgpr_read_b32 v34, a120                               // 000000008D98: D3D84022 18000178
	v_accvgpr_read_b32 v35, a121                               // 000000008DA0: D3D84023 18000179
	v_mul_f32_e32 v34, s47, v34                                // 000000008DA8: 0A44442F
	v_mul_f32_e32 v35, s47, v35                                // 000000008DAC: 0A46462F
	v_cmp_u_f32_e64 s[74:75], v34, v34                         // 000000008DB0: D048004A 00024522
	v_bfe_u32 v226, v34, 16, 1                                 // 000000008DB8: D1C800E2 02052122
	v_add3_u32 v226, v34, v226, v229                           // 000000008DC0: D1FF00E2 0797C522
	v_cndmask_b32_e64 v32, v226, v228, s[74:75]                // 000000008DC8: D1000020 012BC9E2
	v_lshrrev_b32_e32 v32, 16, v32                             // 000000008DD0: 20404090
	v_cmp_u_f32_e64 s[74:75], v35, v35                         // 000000008DD4: D048004A 00024723
	v_bfe_u32 v226, v35, 16, 1                                 // 000000008DDC: D1C800E2 02052123
	v_add3_u32 v226, v35, v226, v229                           // 000000008DE4: D1FF00E2 0797C523
	v_cndmask_b32_e64 v33, v226, v228, s[74:75]                // 000000008DEC: D1000021 012BC9E2
	v_and_or_b32 v56, v33, v227, v32                           // 000000008DF4: D2010038 0483C721
	v_accvgpr_read_b32 v34, a122                               // 000000008DFC: D3D84022 1800017A
	v_accvgpr_read_b32 v35, a123                               // 000000008E04: D3D84023 1800017B
	v_mul_f32_e32 v34, s47, v34                                // 000000008E0C: 0A44442F
	v_mul_f32_e32 v35, s47, v35                                // 000000008E10: 0A46462F
	v_cmp_u_f32_e64 s[74:75], v34, v34                         // 000000008E14: D048004A 00024522
	v_bfe_u32 v226, v34, 16, 1                                 // 000000008E1C: D1C800E2 02052122
	v_add3_u32 v226, v34, v226, v229                           // 000000008E24: D1FF00E2 0797C522
	v_cndmask_b32_e64 v32, v226, v228, s[74:75]                // 000000008E2C: D1000020 012BC9E2
	v_lshrrev_b32_e32 v32, 16, v32                             // 000000008E34: 20404090
	v_cmp_u_f32_e64 s[74:75], v35, v35                         // 000000008E38: D048004A 00024723
	v_bfe_u32 v226, v35, 16, 1                                 // 000000008E40: D1C800E2 02052123
	v_add3_u32 v226, v35, v226, v229                           // 000000008E48: D1FF00E2 0797C523
	v_cndmask_b32_e64 v33, v226, v228, s[74:75]                // 000000008E50: D1000021 012BC9E2
	v_and_or_b32 v57, v33, v227, v32                           // 000000008E58: D2010039 0483C721
	v_accvgpr_read_b32 v34, a124                               // 000000008E60: D3D84022 1800017C
	v_accvgpr_read_b32 v35, a125                               // 000000008E68: D3D84023 1800017D
	v_mul_f32_e32 v34, s47, v34                                // 000000008E70: 0A44442F
	v_mul_f32_e32 v35, s47, v35                                // 000000008E74: 0A46462F
	v_cmp_u_f32_e64 s[74:75], v34, v34                         // 000000008E78: D048004A 00024522
	v_bfe_u32 v226, v34, 16, 1                                 // 000000008E80: D1C800E2 02052122
	v_add3_u32 v226, v34, v226, v229                           // 000000008E88: D1FF00E2 0797C522
	v_cndmask_b32_e64 v32, v226, v228, s[74:75]                // 000000008E90: D1000020 012BC9E2
	v_lshrrev_b32_e32 v32, 16, v32                             // 000000008E98: 20404090
	v_cmp_u_f32_e64 s[74:75], v35, v35                         // 000000008E9C: D048004A 00024723
	v_bfe_u32 v226, v35, 16, 1                                 // 000000008EA4: D1C800E2 02052123
	v_add3_u32 v226, v35, v226, v229                           // 000000008EAC: D1FF00E2 0797C523
	v_cndmask_b32_e64 v33, v226, v228, s[74:75]                // 000000008EB4: D1000021 012BC9E2
	v_and_or_b32 v58, v33, v227, v32                           // 000000008EBC: D201003A 0483C721
	v_accvgpr_read_b32 v34, a126                               // 000000008EC4: D3D84022 1800017E
	v_accvgpr_read_b32 v35, a127                               // 000000008ECC: D3D84023 1800017F
	v_mul_f32_e32 v34, s47, v34                                // 000000008ED4: 0A44442F
	v_mul_f32_e32 v35, s47, v35                                // 000000008ED8: 0A46462F
	v_cmp_u_f32_e64 s[74:75], v34, v34                         // 000000008EDC: D048004A 00024522
	v_bfe_u32 v226, v34, 16, 1                                 // 000000008EE4: D1C800E2 02052122
	v_add3_u32 v226, v34, v226, v229                           // 000000008EEC: D1FF00E2 0797C522
	v_cndmask_b32_e64 v32, v226, v228, s[74:75]                // 000000008EF4: D1000020 012BC9E2
	v_lshrrev_b32_e32 v32, 16, v32                             // 000000008EFC: 20404090
	v_cmp_u_f32_e64 s[74:75], v35, v35                         // 000000008F00: D048004A 00024723
	v_bfe_u32 v226, v35, 16, 1                                 // 000000008F08: D1C800E2 02052123
	v_add3_u32 v226, v35, v226, v229                           // 000000008F10: D1FF00E2 0797C523
	v_cndmask_b32_e64 v33, v226, v228, s[74:75]                // 000000008F18: D1000021 012BC9E2
	v_and_or_b32 v59, v33, v227, v32                           // 000000008F20: D201003B 0483C721
	ds_write_b64 v27, v[52:53]                                 // 000000008F28: D89A0000 0000341B
	ds_write_b64 v27, v[54:55] offset:544                      // 000000008F30: D89A0220 0000361B
	ds_write_b64 v27, v[56:57] offset:1088                     // 000000008F38: D89A0440 0000381B
	ds_write_b64 v27, v[58:59] offset:1632                     // 000000008F40: D89A0660 00003A1B
	s_waitcnt lgkmcnt(0)                                       // 000000008F48: BF8CC07F
	s_barrier                                                  // 000000008F4C: BF8A0000
	ds_read_b64 v[52:53], v26                                  // 000000008F50: D8EC0000 3400001A
	ds_read_b64 v[54:55], v26 offset:128                       // 000000008F58: D8EC0080 3600001A
	ds_read_b64 v[56:57], v26 offset:64                        // 000000008F60: D8EC0040 3800001A
	ds_read_b64 v[58:59], v26 offset:192                       // 000000008F68: D8EC00C0 3A00001A
	s_waitcnt lgkmcnt(0)                                       // 000000008F70: BF8CC07F
	s_mov_b32 s70, s52                                         // 000000008F74: BEC60034
	buffer_store_dwordx4 v[52:55], v5, s[36:39], 0 idxen       // 000000008F78: E07C2000 80093405
	s_mul_i32 s60, 2, s70                                      // 000000008F80: 923C4682
	v_add_u32_e32 v5, s60, v5                                  // 000000008F84: 680A0A3C
	buffer_store_dwordx4 v[56:59], v5, s[36:39], 0 idxen       // 000000008F88: E07C2000 80093805
	s_mul_i32 s60, 2, s70                                      // 000000008F90: 923C4682
	v_add_u32_e32 v5, s60, v5                                  // 000000008F94: 680A0A3C
	s_mul_i32 s60, 12, s70                                     // 000000008F98: 923C468C
	v_add_u32_e32 v5, s60, v5                                  // 000000008F9C: 680A0A3C
	s_barrier                                                  // 000000008FA0: BF8A0000
	s_cmp_ge_i32 1, s73                                        // 000000008FA4: BF034981
	s_cbranch_scc1 label_1661                                  // 000000008FA8: BF8501D2
	v_accvgpr_read_b32 v34, a128                               // 000000008FAC: D3D84022 18000180
	v_accvgpr_read_b32 v35, a129                               // 000000008FB4: D3D84023 18000181
	v_mul_f32_e32 v34, s47, v34                                // 000000008FBC: 0A44442F
	v_mul_f32_e32 v35, s47, v35                                // 000000008FC0: 0A46462F
	v_cmp_u_f32_e64 s[74:75], v34, v34                         // 000000008FC4: D048004A 00024522
	v_bfe_u32 v226, v34, 16, 1                                 // 000000008FCC: D1C800E2 02052122
	v_add3_u32 v226, v34, v226, v229                           // 000000008FD4: D1FF00E2 0797C522
	v_cndmask_b32_e64 v32, v226, v228, s[74:75]                // 000000008FDC: D1000020 012BC9E2
	v_lshrrev_b32_e32 v32, 16, v32                             // 000000008FE4: 20404090
	v_cmp_u_f32_e64 s[74:75], v35, v35                         // 000000008FE8: D048004A 00024723
	v_bfe_u32 v226, v35, 16, 1                                 // 000000008FF0: D1C800E2 02052123
	v_add3_u32 v226, v35, v226, v229                           // 000000008FF8: D1FF00E2 0797C523
	v_cndmask_b32_e64 v33, v226, v228, s[74:75]                // 000000009000: D1000021 012BC9E2
	v_and_or_b32 v60, v33, v227, v32                           // 000000009008: D201003C 0483C721
	v_accvgpr_read_b32 v34, a130                               // 000000009010: D3D84022 18000182
	v_accvgpr_read_b32 v35, a131                               // 000000009018: D3D84023 18000183
	v_mul_f32_e32 v34, s47, v34                                // 000000009020: 0A44442F
	v_mul_f32_e32 v35, s47, v35                                // 000000009024: 0A46462F
	v_cmp_u_f32_e64 s[74:75], v34, v34                         // 000000009028: D048004A 00024522
	v_bfe_u32 v226, v34, 16, 1                                 // 000000009030: D1C800E2 02052122
	v_add3_u32 v226, v34, v226, v229                           // 000000009038: D1FF00E2 0797C522
	v_cndmask_b32_e64 v32, v226, v228, s[74:75]                // 000000009040: D1000020 012BC9E2
	v_lshrrev_b32_e32 v32, 16, v32                             // 000000009048: 20404090
	v_cmp_u_f32_e64 s[74:75], v35, v35                         // 00000000904C: D048004A 00024723
	v_bfe_u32 v226, v35, 16, 1                                 // 000000009054: D1C800E2 02052123
	v_add3_u32 v226, v35, v226, v229                           // 00000000905C: D1FF00E2 0797C523
	v_cndmask_b32_e64 v33, v226, v228, s[74:75]                // 000000009064: D1000021 012BC9E2
	v_and_or_b32 v61, v33, v227, v32                           // 00000000906C: D201003D 0483C721
	v_accvgpr_read_b32 v34, a132                               // 000000009074: D3D84022 18000184
	v_accvgpr_read_b32 v35, a133                               // 00000000907C: D3D84023 18000185
	v_mul_f32_e32 v34, s47, v34                                // 000000009084: 0A44442F
	v_mul_f32_e32 v35, s47, v35                                // 000000009088: 0A46462F
	v_cmp_u_f32_e64 s[74:75], v34, v34                         // 00000000908C: D048004A 00024522
	v_bfe_u32 v226, v34, 16, 1                                 // 000000009094: D1C800E2 02052122
	v_add3_u32 v226, v34, v226, v229                           // 00000000909C: D1FF00E2 0797C522
	v_cndmask_b32_e64 v32, v226, v228, s[74:75]                // 0000000090A4: D1000020 012BC9E2
	v_lshrrev_b32_e32 v32, 16, v32                             // 0000000090AC: 20404090
	v_cmp_u_f32_e64 s[74:75], v35, v35                         // 0000000090B0: D048004A 00024723
	v_bfe_u32 v226, v35, 16, 1                                 // 0000000090B8: D1C800E2 02052123
	v_add3_u32 v226, v35, v226, v229                           // 0000000090C0: D1FF00E2 0797C523
	v_cndmask_b32_e64 v33, v226, v228, s[74:75]                // 0000000090C8: D1000021 012BC9E2
	v_and_or_b32 v62, v33, v227, v32                           // 0000000090D0: D201003E 0483C721
	v_accvgpr_read_b32 v34, a134                               // 0000000090D8: D3D84022 18000186
	v_accvgpr_read_b32 v35, a135                               // 0000000090E0: D3D84023 18000187
	v_mul_f32_e32 v34, s47, v34                                // 0000000090E8: 0A44442F
	v_mul_f32_e32 v35, s47, v35                                // 0000000090EC: 0A46462F
	v_cmp_u_f32_e64 s[74:75], v34, v34                         // 0000000090F0: D048004A 00024522
	v_bfe_u32 v226, v34, 16, 1                                 // 0000000090F8: D1C800E2 02052122
	v_add3_u32 v226, v34, v226, v229                           // 000000009100: D1FF00E2 0797C522
	v_cndmask_b32_e64 v32, v226, v228, s[74:75]                // 000000009108: D1000020 012BC9E2
	v_lshrrev_b32_e32 v32, 16, v32                             // 000000009110: 20404090
	v_cmp_u_f32_e64 s[74:75], v35, v35                         // 000000009114: D048004A 00024723
	v_bfe_u32 v226, v35, 16, 1                                 // 00000000911C: D1C800E2 02052123
	v_add3_u32 v226, v35, v226, v229                           // 000000009124: D1FF00E2 0797C523
	v_cndmask_b32_e64 v33, v226, v228, s[74:75]                // 00000000912C: D1000021 012BC9E2
	v_and_or_b32 v63, v33, v227, v32                           // 000000009134: D201003F 0483C721
	v_accvgpr_read_b32 v34, a136                               // 00000000913C: D3D84022 18000188
	v_accvgpr_read_b32 v35, a137                               // 000000009144: D3D84023 18000189
	v_mul_f32_e32 v34, s47, v34                                // 00000000914C: 0A44442F
	v_mul_f32_e32 v35, s47, v35                                // 000000009150: 0A46462F
	v_cmp_u_f32_e64 s[74:75], v34, v34                         // 000000009154: D048004A 00024522
	v_bfe_u32 v226, v34, 16, 1                                 // 00000000915C: D1C800E2 02052122
	v_add3_u32 v226, v34, v226, v229                           // 000000009164: D1FF00E2 0797C522
	v_cndmask_b32_e64 v32, v226, v228, s[74:75]                // 00000000916C: D1000020 012BC9E2
	v_lshrrev_b32_e32 v32, 16, v32                             // 000000009174: 20404090
	v_cmp_u_f32_e64 s[74:75], v35, v35                         // 000000009178: D048004A 00024723
	v_bfe_u32 v226, v35, 16, 1                                 // 000000009180: D1C800E2 02052123
	v_add3_u32 v226, v35, v226, v229                           // 000000009188: D1FF00E2 0797C523
	v_cndmask_b32_e64 v33, v226, v228, s[74:75]                // 000000009190: D1000021 012BC9E2
	v_and_or_b32 v64, v33, v227, v32                           // 000000009198: D2010040 0483C721
	v_accvgpr_read_b32 v34, a138                               // 0000000091A0: D3D84022 1800018A
	v_accvgpr_read_b32 v35, a139                               // 0000000091A8: D3D84023 1800018B
	v_mul_f32_e32 v34, s47, v34                                // 0000000091B0: 0A44442F
	v_mul_f32_e32 v35, s47, v35                                // 0000000091B4: 0A46462F
	v_cmp_u_f32_e64 s[74:75], v34, v34                         // 0000000091B8: D048004A 00024522
	v_bfe_u32 v226, v34, 16, 1                                 // 0000000091C0: D1C800E2 02052122
	v_add3_u32 v226, v34, v226, v229                           // 0000000091C8: D1FF00E2 0797C522
	v_cndmask_b32_e64 v32, v226, v228, s[74:75]                // 0000000091D0: D1000020 012BC9E2
	v_lshrrev_b32_e32 v32, 16, v32                             // 0000000091D8: 20404090
	v_cmp_u_f32_e64 s[74:75], v35, v35                         // 0000000091DC: D048004A 00024723
	v_bfe_u32 v226, v35, 16, 1                                 // 0000000091E4: D1C800E2 02052123
	v_add3_u32 v226, v35, v226, v229                           // 0000000091EC: D1FF00E2 0797C523
	v_cndmask_b32_e64 v33, v226, v228, s[74:75]                // 0000000091F4: D1000021 012BC9E2
	v_and_or_b32 v65, v33, v227, v32                           // 0000000091FC: D2010041 0483C721
	v_accvgpr_read_b32 v34, a140                               // 000000009204: D3D84022 1800018C
	v_accvgpr_read_b32 v35, a141                               // 00000000920C: D3D84023 1800018D
	v_mul_f32_e32 v34, s47, v34                                // 000000009214: 0A44442F
	v_mul_f32_e32 v35, s47, v35                                // 000000009218: 0A46462F
	v_cmp_u_f32_e64 s[74:75], v34, v34                         // 00000000921C: D048004A 00024522
	v_bfe_u32 v226, v34, 16, 1                                 // 000000009224: D1C800E2 02052122
	v_add3_u32 v226, v34, v226, v229                           // 00000000922C: D1FF00E2 0797C522
	v_cndmask_b32_e64 v32, v226, v228, s[74:75]                // 000000009234: D1000020 012BC9E2
	v_lshrrev_b32_e32 v32, 16, v32                             // 00000000923C: 20404090
	v_cmp_u_f32_e64 s[74:75], v35, v35                         // 000000009240: D048004A 00024723
	v_bfe_u32 v226, v35, 16, 1                                 // 000000009248: D1C800E2 02052123
	v_add3_u32 v226, v35, v226, v229                           // 000000009250: D1FF00E2 0797C523
	v_cndmask_b32_e64 v33, v226, v228, s[74:75]                // 000000009258: D1000021 012BC9E2
	v_and_or_b32 v66, v33, v227, v32                           // 000000009260: D2010042 0483C721
	v_accvgpr_read_b32 v34, a142                               // 000000009268: D3D84022 1800018E
	v_accvgpr_read_b32 v35, a143                               // 000000009270: D3D84023 1800018F
	v_mul_f32_e32 v34, s47, v34                                // 000000009278: 0A44442F
	v_mul_f32_e32 v35, s47, v35                                // 00000000927C: 0A46462F
	v_cmp_u_f32_e64 s[74:75], v34, v34                         // 000000009280: D048004A 00024522
	v_bfe_u32 v226, v34, 16, 1                                 // 000000009288: D1C800E2 02052122
	v_add3_u32 v226, v34, v226, v229                           // 000000009290: D1FF00E2 0797C522
	v_cndmask_b32_e64 v32, v226, v228, s[74:75]                // 000000009298: D1000020 012BC9E2
	v_lshrrev_b32_e32 v32, 16, v32                             // 0000000092A0: 20404090
	v_cmp_u_f32_e64 s[74:75], v35, v35                         // 0000000092A4: D048004A 00024723
	v_bfe_u32 v226, v35, 16, 1                                 // 0000000092AC: D1C800E2 02052123
	v_add3_u32 v226, v35, v226, v229                           // 0000000092B4: D1FF00E2 0797C523
	v_cndmask_b32_e64 v33, v226, v228, s[74:75]                // 0000000092BC: D1000021 012BC9E2
	v_and_or_b32 v67, v33, v227, v32                           // 0000000092C4: D2010043 0483C721
	ds_write_b64 v27, v[60:61] offset:8704                     // 0000000092CC: D89A2200 00003C1B
	ds_write_b64 v27, v[62:63] offset:9248                     // 0000000092D4: D89A2420 00003E1B
	ds_write_b64 v27, v[64:65] offset:9792                     // 0000000092DC: D89A2640 0000401B
	ds_write_b64 v27, v[66:67] offset:10336                    // 0000000092E4: D89A2860 0000421B
	s_waitcnt lgkmcnt(0)                                       // 0000000092EC: BF8CC07F
	s_barrier                                                  // 0000000092F0: BF8A0000
	ds_read_b64 v[60:61], v26 offset:8704                      // 0000000092F4: D8EC2200 3C00001A
	ds_read_b64 v[62:63], v26 offset:8832                      // 0000000092FC: D8EC2280 3E00001A
	ds_read_b64 v[64:65], v26 offset:8768                      // 000000009304: D8EC2240 4000001A
	ds_read_b64 v[66:67], v26 offset:8896                      // 00000000930C: D8EC22C0 4200001A
	s_waitcnt lgkmcnt(0)                                       // 000000009314: BF8CC07F
	s_mov_b32 s70, s52                                         // 000000009318: BEC60034
	buffer_store_dwordx4 v[60:63], v5, s[36:39], 0 idxen       // 00000000931C: E07C2000 80093C05
	s_mul_i32 s60, 2, s70                                      // 000000009324: 923C4682
	v_add_u32_e32 v5, s60, v5                                  // 000000009328: 680A0A3C
	buffer_store_dwordx4 v[64:67], v5, s[36:39], 0 idxen       // 00000000932C: E07C2000 80094005
	s_mul_i32 s60, 2, s70                                      // 000000009334: 923C4682
	v_add_u32_e32 v5, s60, v5                                  // 000000009338: 680A0A3C
	s_mul_i32 s60, 12, s70                                     // 00000000933C: 923C468C
	v_add_u32_e32 v5, s60, v5                                  // 000000009340: 680A0A3C
	s_barrier                                                  // 000000009344: BF8A0000
	s_cmp_ge_i32 2, s73                                        // 000000009348: BF034982
	s_cbranch_scc1 label_1661                                  // 00000000934C: BF8500E9
	v_accvgpr_read_b32 v34, a144                               // 000000009350: D3D84022 18000190
	v_accvgpr_read_b32 v35, a145                               // 000000009358: D3D84023 18000191
	v_mul_f32_e32 v34, s47, v34                                // 000000009360: 0A44442F
	v_mul_f32_e32 v35, s47, v35                                // 000000009364: 0A46462F
	v_cmp_u_f32_e64 s[74:75], v34, v34                         // 000000009368: D048004A 00024522
	v_bfe_u32 v226, v34, 16, 1                                 // 000000009370: D1C800E2 02052122
	v_add3_u32 v226, v34, v226, v229                           // 000000009378: D1FF00E2 0797C522
	v_cndmask_b32_e64 v32, v226, v228, s[74:75]                // 000000009380: D1000020 012BC9E2
	v_lshrrev_b32_e32 v32, 16, v32                             // 000000009388: 20404090
	v_cmp_u_f32_e64 s[74:75], v35, v35                         // 00000000938C: D048004A 00024723
	v_bfe_u32 v226, v35, 16, 1                                 // 000000009394: D1C800E2 02052123
	v_add3_u32 v226, v35, v226, v229                           // 00000000939C: D1FF00E2 0797C523
	v_cndmask_b32_e64 v33, v226, v228, s[74:75]                // 0000000093A4: D1000021 012BC9E2
	v_and_or_b32 v68, v33, v227, v32                           // 0000000093AC: D2010044 0483C721
	v_accvgpr_read_b32 v34, a146                               // 0000000093B4: D3D84022 18000192
	v_accvgpr_read_b32 v35, a147                               // 0000000093BC: D3D84023 18000193
	v_mul_f32_e32 v34, s47, v34                                // 0000000093C4: 0A44442F
	v_mul_f32_e32 v35, s47, v35                                // 0000000093C8: 0A46462F
	v_cmp_u_f32_e64 s[74:75], v34, v34                         // 0000000093CC: D048004A 00024522
	v_bfe_u32 v226, v34, 16, 1                                 // 0000000093D4: D1C800E2 02052122
	v_add3_u32 v226, v34, v226, v229                           // 0000000093DC: D1FF00E2 0797C522
	v_cndmask_b32_e64 v32, v226, v228, s[74:75]                // 0000000093E4: D1000020 012BC9E2
	v_lshrrev_b32_e32 v32, 16, v32                             // 0000000093EC: 20404090
	v_cmp_u_f32_e64 s[74:75], v35, v35                         // 0000000093F0: D048004A 00024723
	v_bfe_u32 v226, v35, 16, 1                                 // 0000000093F8: D1C800E2 02052123
	v_add3_u32 v226, v35, v226, v229                           // 000000009400: D1FF00E2 0797C523
	v_cndmask_b32_e64 v33, v226, v228, s[74:75]                // 000000009408: D1000021 012BC9E2
	v_and_or_b32 v69, v33, v227, v32                           // 000000009410: D2010045 0483C721
	v_accvgpr_read_b32 v34, a148                               // 000000009418: D3D84022 18000194
	v_accvgpr_read_b32 v35, a149                               // 000000009420: D3D84023 18000195
	v_mul_f32_e32 v34, s47, v34                                // 000000009428: 0A44442F
	v_mul_f32_e32 v35, s47, v35                                // 00000000942C: 0A46462F
	v_cmp_u_f32_e64 s[74:75], v34, v34                         // 000000009430: D048004A 00024522
	v_bfe_u32 v226, v34, 16, 1                                 // 000000009438: D1C800E2 02052122
	v_add3_u32 v226, v34, v226, v229                           // 000000009440: D1FF00E2 0797C522
	v_cndmask_b32_e64 v32, v226, v228, s[74:75]                // 000000009448: D1000020 012BC9E2
	v_lshrrev_b32_e32 v32, 16, v32                             // 000000009450: 20404090
	v_cmp_u_f32_e64 s[74:75], v35, v35                         // 000000009454: D048004A 00024723
	v_bfe_u32 v226, v35, 16, 1                                 // 00000000945C: D1C800E2 02052123
	v_add3_u32 v226, v35, v226, v229                           // 000000009464: D1FF00E2 0797C523
	v_cndmask_b32_e64 v33, v226, v228, s[74:75]                // 00000000946C: D1000021 012BC9E2
	v_and_or_b32 v70, v33, v227, v32                           // 000000009474: D2010046 0483C721
	v_accvgpr_read_b32 v34, a150                               // 00000000947C: D3D84022 18000196
	v_accvgpr_read_b32 v35, a151                               // 000000009484: D3D84023 18000197
	v_mul_f32_e32 v34, s47, v34                                // 00000000948C: 0A44442F
	v_mul_f32_e32 v35, s47, v35                                // 000000009490: 0A46462F
	v_cmp_u_f32_e64 s[74:75], v34, v34                         // 000000009494: D048004A 00024522
	v_bfe_u32 v226, v34, 16, 1                                 // 00000000949C: D1C800E2 02052122
	v_add3_u32 v226, v34, v226, v229                           // 0000000094A4: D1FF00E2 0797C522
	v_cndmask_b32_e64 v32, v226, v228, s[74:75]                // 0000000094AC: D1000020 012BC9E2
	v_lshrrev_b32_e32 v32, 16, v32                             // 0000000094B4: 20404090
	v_cmp_u_f32_e64 s[74:75], v35, v35                         // 0000000094B8: D048004A 00024723
	v_bfe_u32 v226, v35, 16, 1                                 // 0000000094C0: D1C800E2 02052123
	v_add3_u32 v226, v35, v226, v229                           // 0000000094C8: D1FF00E2 0797C523
	v_cndmask_b32_e64 v33, v226, v228, s[74:75]                // 0000000094D0: D1000021 012BC9E2
	v_and_or_b32 v71, v33, v227, v32                           // 0000000094D8: D2010047 0483C721
	v_accvgpr_read_b32 v34, a152                               // 0000000094E0: D3D84022 18000198
	v_accvgpr_read_b32 v35, a153                               // 0000000094E8: D3D84023 18000199
	v_mul_f32_e32 v34, s47, v34                                // 0000000094F0: 0A44442F
	v_mul_f32_e32 v35, s47, v35                                // 0000000094F4: 0A46462F
	v_cmp_u_f32_e64 s[74:75], v34, v34                         // 0000000094F8: D048004A 00024522
	v_bfe_u32 v226, v34, 16, 1                                 // 000000009500: D1C800E2 02052122
	v_add3_u32 v226, v34, v226, v229                           // 000000009508: D1FF00E2 0797C522
	v_cndmask_b32_e64 v32, v226, v228, s[74:75]                // 000000009510: D1000020 012BC9E2
	v_lshrrev_b32_e32 v32, 16, v32                             // 000000009518: 20404090
	v_cmp_u_f32_e64 s[74:75], v35, v35                         // 00000000951C: D048004A 00024723
	v_bfe_u32 v226, v35, 16, 1                                 // 000000009524: D1C800E2 02052123
	v_add3_u32 v226, v35, v226, v229                           // 00000000952C: D1FF00E2 0797C523
	v_cndmask_b32_e64 v33, v226, v228, s[74:75]                // 000000009534: D1000021 012BC9E2
	v_and_or_b32 v72, v33, v227, v32                           // 00000000953C: D2010048 0483C721
	v_accvgpr_read_b32 v34, a154                               // 000000009544: D3D84022 1800019A
	v_accvgpr_read_b32 v35, a155                               // 00000000954C: D3D84023 1800019B
	v_mul_f32_e32 v34, s47, v34                                // 000000009554: 0A44442F
	v_mul_f32_e32 v35, s47, v35                                // 000000009558: 0A46462F
	v_cmp_u_f32_e64 s[74:75], v34, v34                         // 00000000955C: D048004A 00024522
	v_bfe_u32 v226, v34, 16, 1                                 // 000000009564: D1C800E2 02052122
	v_add3_u32 v226, v34, v226, v229                           // 00000000956C: D1FF00E2 0797C522
	v_cndmask_b32_e64 v32, v226, v228, s[74:75]                // 000000009574: D1000020 012BC9E2
	v_lshrrev_b32_e32 v32, 16, v32                             // 00000000957C: 20404090
	v_cmp_u_f32_e64 s[74:75], v35, v35                         // 000000009580: D048004A 00024723
	v_bfe_u32 v226, v35, 16, 1                                 // 000000009588: D1C800E2 02052123
	v_add3_u32 v226, v35, v226, v229                           // 000000009590: D1FF00E2 0797C523
	v_cndmask_b32_e64 v33, v226, v228, s[74:75]                // 000000009598: D1000021 012BC9E2
	v_and_or_b32 v73, v33, v227, v32                           // 0000000095A0: D2010049 0483C721
	v_accvgpr_read_b32 v34, a156                               // 0000000095A8: D3D84022 1800019C
	v_accvgpr_read_b32 v35, a157                               // 0000000095B0: D3D84023 1800019D
	v_mul_f32_e32 v34, s47, v34                                // 0000000095B8: 0A44442F
	v_mul_f32_e32 v35, s47, v35                                // 0000000095BC: 0A46462F
	v_cmp_u_f32_e64 s[74:75], v34, v34                         // 0000000095C0: D048004A 00024522
	v_bfe_u32 v226, v34, 16, 1                                 // 0000000095C8: D1C800E2 02052122
	v_add3_u32 v226, v34, v226, v229                           // 0000000095D0: D1FF00E2 0797C522
	v_cndmask_b32_e64 v32, v226, v228, s[74:75]                // 0000000095D8: D1000020 012BC9E2
	v_lshrrev_b32_e32 v32, 16, v32                             // 0000000095E0: 20404090
	v_cmp_u_f32_e64 s[74:75], v35, v35                         // 0000000095E4: D048004A 00024723
	v_bfe_u32 v226, v35, 16, 1                                 // 0000000095EC: D1C800E2 02052123
	v_add3_u32 v226, v35, v226, v229                           // 0000000095F4: D1FF00E2 0797C523
	v_cndmask_b32_e64 v33, v226, v228, s[74:75]                // 0000000095FC: D1000021 012BC9E2
	v_and_or_b32 v74, v33, v227, v32                           // 000000009604: D201004A 0483C721
	v_accvgpr_read_b32 v34, a158                               // 00000000960C: D3D84022 1800019E
	v_accvgpr_read_b32 v35, a159                               // 000000009614: D3D84023 1800019F
	v_mul_f32_e32 v34, s47, v34                                // 00000000961C: 0A44442F
	v_mul_f32_e32 v35, s47, v35                                // 000000009620: 0A46462F
	v_cmp_u_f32_e64 s[74:75], v34, v34                         // 000000009624: D048004A 00024522
	v_bfe_u32 v226, v34, 16, 1                                 // 00000000962C: D1C800E2 02052122
	v_add3_u32 v226, v34, v226, v229                           // 000000009634: D1FF00E2 0797C522
	v_cndmask_b32_e64 v32, v226, v228, s[74:75]                // 00000000963C: D1000020 012BC9E2
	v_lshrrev_b32_e32 v32, 16, v32                             // 000000009644: 20404090
	v_cmp_u_f32_e64 s[74:75], v35, v35                         // 000000009648: D048004A 00024723
	v_bfe_u32 v226, v35, 16, 1                                 // 000000009650: D1C800E2 02052123
	v_add3_u32 v226, v35, v226, v229                           // 000000009658: D1FF00E2 0797C523
	v_cndmask_b32_e64 v33, v226, v228, s[74:75]                // 000000009660: D1000021 012BC9E2
	v_and_or_b32 v75, v33, v227, v32                           // 000000009668: D201004B 0483C721
	ds_write_b64 v27, v[68:69] offset:17408                    // 000000009670: D89A4400 0000441B
	ds_write_b64 v27, v[70:71] offset:17952                    // 000000009678: D89A4620 0000461B
	ds_write_b64 v27, v[72:73] offset:18496                    // 000000009680: D89A4840 0000481B
	ds_write_b64 v27, v[74:75] offset:19040                    // 000000009688: D89A4A60 00004A1B
	s_waitcnt lgkmcnt(0)                                       // 000000009690: BF8CC07F
	s_barrier                                                  // 000000009694: BF8A0000
	ds_read_b64 v[68:69], v26 offset:17408                     // 000000009698: D8EC4400 4400001A
	ds_read_b64 v[70:71], v26 offset:17536                     // 0000000096A0: D8EC4480 4600001A
	ds_read_b64 v[72:73], v26 offset:17472                     // 0000000096A8: D8EC4440 4800001A
	ds_read_b64 v[74:75], v26 offset:17600                     // 0000000096B0: D8EC44C0 4A00001A
	s_waitcnt lgkmcnt(0)                                       // 0000000096B8: BF8CC07F
	s_mov_b32 s70, s52                                         // 0000000096BC: BEC60034
	buffer_store_dwordx4 v[68:71], v5, s[36:39], 0 idxen       // 0000000096C0: E07C2000 80094405
	s_mul_i32 s60, 2, s70                                      // 0000000096C8: 923C4682
	v_add_u32_e32 v5, s60, v5                                  // 0000000096CC: 680A0A3C
	buffer_store_dwordx4 v[72:75], v5, s[36:39], 0 idxen       // 0000000096D0: E07C2000 80094805
	s_mul_i32 s60, 2, s70                                      // 0000000096D8: 923C4682
	v_add_u32_e32 v5, s60, v5                                  // 0000000096DC: 680A0A3C
	s_mul_i32 s60, 12, s70                                     // 0000000096E0: 923C468C
	v_add_u32_e32 v5, s60, v5                                  // 0000000096E4: 680A0A3C
	s_barrier                                                  // 0000000096E8: BF8A0000
	s_cmp_ge_i32 3, s73                                        // 0000000096EC: BF034983
	s_cbranch_scc1 label_1661                                  // 0000000096F0: BF850000

00000000000096f4 <label_1661>:
	v_mov_b32_e32 v34, v178                                    // 0000000096F4: 7E4403B2
	v_mov_b32_e32 v35, v179                                    // 0000000096F8: 7E4603B3
	v_cmp_u_f32_e64 s[74:75], v34, v34                         // 0000000096FC: D048004A 00024522
	v_bfe_u32 v226, v34, 16, 1                                 // 000000009704: D1C800E2 02052122
	v_add3_u32 v226, v34, v226, v229                           // 00000000970C: D1FF00E2 0797C522
	v_cndmask_b32_e64 v32, v226, v228, s[74:75]                // 000000009714: D1000020 012BC9E2
	v_lshrrev_b32_e32 v32, 16, v32                             // 00000000971C: 20404090
	v_cmp_u_f32_e64 s[74:75], v35, v35                         // 000000009720: D048004A 00024723
	v_bfe_u32 v226, v35, 16, 1                                 // 000000009728: D1C800E2 02052123
	v_add3_u32 v226, v35, v226, v229                           // 000000009730: D1FF00E2 0797C523
	v_cndmask_b32_e64 v33, v226, v228, s[74:75]                // 000000009738: D1000021 012BC9E2
	v_and_or_b32 v178, v33, v227, v32                          // 000000009740: D20100B2 0483C721
	v_mov_b32_e32 v34, v180                                    // 000000009748: 7E4403B4
	v_mov_b32_e32 v35, v181                                    // 00000000974C: 7E4603B5
	v_cmp_u_f32_e64 s[74:75], v34, v34                         // 000000009750: D048004A 00024522
	v_bfe_u32 v226, v34, 16, 1                                 // 000000009758: D1C800E2 02052122
	v_add3_u32 v226, v34, v226, v229                           // 000000009760: D1FF00E2 0797C522
	v_cndmask_b32_e64 v32, v226, v228, s[74:75]                // 000000009768: D1000020 012BC9E2
	v_lshrrev_b32_e32 v32, 16, v32                             // 000000009770: 20404090
	v_cmp_u_f32_e64 s[74:75], v35, v35                         // 000000009774: D048004A 00024723
	v_bfe_u32 v226, v35, 16, 1                                 // 00000000977C: D1C800E2 02052123
	v_add3_u32 v226, v35, v226, v229                           // 000000009784: D1FF00E2 0797C523
	v_cndmask_b32_e64 v33, v226, v228, s[74:75]                // 00000000978C: D1000021 012BC9E2
	v_and_or_b32 v179, v33, v227, v32                          // 000000009794: D20100B3 0483C721
	v_mov_b32_e32 v34, v182                                    // 00000000979C: 7E4403B6
	v_mov_b32_e32 v35, v183                                    // 0000000097A0: 7E4603B7
	v_cmp_u_f32_e64 s[74:75], v34, v34                         // 0000000097A4: D048004A 00024522
	v_bfe_u32 v226, v34, 16, 1                                 // 0000000097AC: D1C800E2 02052122
	v_add3_u32 v226, v34, v226, v229                           // 0000000097B4: D1FF00E2 0797C522
	v_cndmask_b32_e64 v32, v226, v228, s[74:75]                // 0000000097BC: D1000020 012BC9E2
	v_lshrrev_b32_e32 v32, 16, v32                             // 0000000097C4: 20404090
	v_cmp_u_f32_e64 s[74:75], v35, v35                         // 0000000097C8: D048004A 00024723
	v_bfe_u32 v226, v35, 16, 1                                 // 0000000097D0: D1C800E2 02052123
	v_add3_u32 v226, v35, v226, v229                           // 0000000097D8: D1FF00E2 0797C523
	v_cndmask_b32_e64 v33, v226, v228, s[74:75]                // 0000000097E0: D1000021 012BC9E2
	v_and_or_b32 v180, v33, v227, v32                          // 0000000097E8: D20100B4 0483C721
	v_mov_b32_e32 v34, v184                                    // 0000000097F0: 7E4403B8
	v_mov_b32_e32 v35, v185                                    // 0000000097F4: 7E4603B9
	v_cmp_u_f32_e64 s[74:75], v34, v34                         // 0000000097F8: D048004A 00024522
	v_bfe_u32 v226, v34, 16, 1                                 // 000000009800: D1C800E2 02052122
	v_add3_u32 v226, v34, v226, v229                           // 000000009808: D1FF00E2 0797C522
	v_cndmask_b32_e64 v32, v226, v228, s[74:75]                // 000000009810: D1000020 012BC9E2
	v_lshrrev_b32_e32 v32, 16, v32                             // 000000009818: 20404090
	v_cmp_u_f32_e64 s[74:75], v35, v35                         // 00000000981C: D048004A 00024723
	v_bfe_u32 v226, v35, 16, 1                                 // 000000009824: D1C800E2 02052123
	v_add3_u32 v226, v35, v226, v229                           // 00000000982C: D1FF00E2 0797C523
	v_cndmask_b32_e64 v33, v226, v228, s[74:75]                // 000000009834: D1000021 012BC9E2
	v_and_or_b32 v181, v33, v227, v32                          // 00000000983C: D20100B5 0483C721
	v_mov_b32_e32 v34, v186                                    // 000000009844: 7E4403BA
	v_mov_b32_e32 v35, v187                                    // 000000009848: 7E4603BB
	v_cmp_u_f32_e64 s[74:75], v34, v34                         // 00000000984C: D048004A 00024522
	v_bfe_u32 v226, v34, 16, 1                                 // 000000009854: D1C800E2 02052122
	v_add3_u32 v226, v34, v226, v229                           // 00000000985C: D1FF00E2 0797C522
	v_cndmask_b32_e64 v32, v226, v228, s[74:75]                // 000000009864: D1000020 012BC9E2
	v_lshrrev_b32_e32 v32, 16, v32                             // 00000000986C: 20404090
	v_cmp_u_f32_e64 s[74:75], v35, v35                         // 000000009870: D048004A 00024723
	v_bfe_u32 v226, v35, 16, 1                                 // 000000009878: D1C800E2 02052123
	v_add3_u32 v226, v35, v226, v229                           // 000000009880: D1FF00E2 0797C523
	v_cndmask_b32_e64 v33, v226, v228, s[74:75]                // 000000009888: D1000021 012BC9E2
	v_and_or_b32 v182, v33, v227, v32                          // 000000009890: D20100B6 0483C721
	v_mov_b32_e32 v34, v188                                    // 000000009898: 7E4403BC
	v_mov_b32_e32 v35, v189                                    // 00000000989C: 7E4603BD
	v_cmp_u_f32_e64 s[74:75], v34, v34                         // 0000000098A0: D048004A 00024522
	v_bfe_u32 v226, v34, 16, 1                                 // 0000000098A8: D1C800E2 02052122
	v_add3_u32 v226, v34, v226, v229                           // 0000000098B0: D1FF00E2 0797C522
	v_cndmask_b32_e64 v32, v226, v228, s[74:75]                // 0000000098B8: D1000020 012BC9E2
	v_lshrrev_b32_e32 v32, 16, v32                             // 0000000098C0: 20404090
	v_cmp_u_f32_e64 s[74:75], v35, v35                         // 0000000098C4: D048004A 00024723
	v_bfe_u32 v226, v35, 16, 1                                 // 0000000098CC: D1C800E2 02052123
	v_add3_u32 v226, v35, v226, v229                           // 0000000098D4: D1FF00E2 0797C523
	v_cndmask_b32_e64 v33, v226, v228, s[74:75]                // 0000000098DC: D1000021 012BC9E2
	v_and_or_b32 v183, v33, v227, v32                          // 0000000098E4: D20100B7 0483C721
	v_mov_b32_e32 v34, v190                                    // 0000000098EC: 7E4403BE
	v_mov_b32_e32 v35, v191                                    // 0000000098F0: 7E4603BF
	v_cmp_u_f32_e64 s[74:75], v34, v34                         // 0000000098F4: D048004A 00024522
	v_bfe_u32 v226, v34, 16, 1                                 // 0000000098FC: D1C800E2 02052122
	v_add3_u32 v226, v34, v226, v229                           // 000000009904: D1FF00E2 0797C522
	v_cndmask_b32_e64 v32, v226, v228, s[74:75]                // 00000000990C: D1000020 012BC9E2
	v_lshrrev_b32_e32 v32, 16, v32                             // 000000009914: 20404090
	v_cmp_u_f32_e64 s[74:75], v35, v35                         // 000000009918: D048004A 00024723
	v_bfe_u32 v226, v35, 16, 1                                 // 000000009920: D1C800E2 02052123
	v_add3_u32 v226, v35, v226, v229                           // 000000009928: D1FF00E2 0797C523
	v_cndmask_b32_e64 v33, v226, v228, s[74:75]                // 000000009930: D1000021 012BC9E2
	v_and_or_b32 v184, v33, v227, v32                          // 000000009938: D20100B8 0483C721
	v_mov_b32_e32 v34, v192                                    // 000000009940: 7E4403C0
	v_mov_b32_e32 v35, v193                                    // 000000009944: 7E4603C1
	v_cmp_u_f32_e64 s[74:75], v34, v34                         // 000000009948: D048004A 00024522
	v_bfe_u32 v226, v34, 16, 1                                 // 000000009950: D1C800E2 02052122
	v_add3_u32 v226, v34, v226, v229                           // 000000009958: D1FF00E2 0797C522
	v_cndmask_b32_e64 v32, v226, v228, s[74:75]                // 000000009960: D1000020 012BC9E2
	v_lshrrev_b32_e32 v32, 16, v32                             // 000000009968: 20404090
	v_cmp_u_f32_e64 s[74:75], v35, v35                         // 00000000996C: D048004A 00024723
	v_bfe_u32 v226, v35, 16, 1                                 // 000000009974: D1C800E2 02052123
	v_add3_u32 v226, v35, v226, v229                           // 00000000997C: D1FF00E2 0797C523
	v_cndmask_b32_e64 v33, v226, v228, s[74:75]                // 000000009984: D1000021 012BC9E2
	v_and_or_b32 v185, v33, v227, v32                          // 00000000998C: D20100B9 0483C721
	ds_write_b64 v27, v[178:179]                               // 000000009994: D89A0000 0000B21B
	ds_write_b64 v27, v[180:181] offset:544                    // 00000000999C: D89A0220 0000B41B
	ds_write_b64 v27, v[182:183] offset:1088                   // 0000000099A4: D89A0440 0000B61B
	ds_write_b64 v27, v[184:185] offset:1632                   // 0000000099AC: D89A0660 0000B81B
	s_waitcnt lgkmcnt(0)                                       // 0000000099B4: BF8CC07F
	s_barrier                                                  // 0000000099B8: BF8A0000
	ds_read_b64 v[178:179], v26                                // 0000000099BC: D8EC0000 B200001A
	ds_read_b64 v[180:181], v26 offset:128                     // 0000000099C4: D8EC0080 B400001A
	ds_read_b64 v[182:183], v26 offset:64                      // 0000000099CC: D8EC0040 B600001A
	ds_read_b64 v[184:185], v26 offset:192                     // 0000000099D4: D8EC00C0 B800001A
	s_waitcnt lgkmcnt(0)                                       // 0000000099DC: BF8CC07F
	s_mov_b32 s70, s53                                         // 0000000099E0: BEC60035
	buffer_store_dwordx4 v[178:181], v10, s[40:43], 0 idxen    // 0000000099E4: E07C2000 800AB20A
	s_mul_i32 s60, 2, s70                                      // 0000000099EC: 923C4682
	v_add_u32_e32 v10, s60, v10                                // 0000000099F0: 6814143C
	buffer_store_dwordx4 v[182:185], v10, s[40:43], 0 idxen    // 0000000099F4: E07C2000 800AB60A
	s_mul_i32 s60, 2, s70                                      // 0000000099FC: 923C4682
	v_add_u32_e32 v10, s60, v10                                // 000000009A00: 6814143C
	s_mul_i32 s60, 12, s70                                     // 000000009A04: 923C468C
	v_add_u32_e32 v10, s60, v10                                // 000000009A08: 6814143C
	s_cmp_ge_i32 1, s73                                        // 000000009A0C: BF034981
	s_cbranch_scc1 label_18B9                                  // 000000009A10: BF850190
	v_mov_b32_e32 v34, v194                                    // 000000009A14: 7E4403C2
	v_mov_b32_e32 v35, v195                                    // 000000009A18: 7E4603C3
	v_cmp_u_f32_e64 s[74:75], v34, v34                         // 000000009A1C: D048004A 00024522
	v_bfe_u32 v226, v34, 16, 1                                 // 000000009A24: D1C800E2 02052122
	v_add3_u32 v226, v34, v226, v229                           // 000000009A2C: D1FF00E2 0797C522
	v_cndmask_b32_e64 v32, v226, v228, s[74:75]                // 000000009A34: D1000020 012BC9E2
	v_lshrrev_b32_e32 v32, 16, v32                             // 000000009A3C: 20404090
	v_cmp_u_f32_e64 s[74:75], v35, v35                         // 000000009A40: D048004A 00024723
	v_bfe_u32 v226, v35, 16, 1                                 // 000000009A48: D1C800E2 02052123
	v_add3_u32 v226, v35, v226, v229                           // 000000009A50: D1FF00E2 0797C523
	v_cndmask_b32_e64 v33, v226, v228, s[74:75]                // 000000009A58: D1000021 012BC9E2
	v_and_or_b32 v186, v33, v227, v32                          // 000000009A60: D20100BA 0483C721
	v_mov_b32_e32 v34, v196                                    // 000000009A68: 7E4403C4
	v_mov_b32_e32 v35, v197                                    // 000000009A6C: 7E4603C5
	v_cmp_u_f32_e64 s[74:75], v34, v34                         // 000000009A70: D048004A 00024522
	v_bfe_u32 v226, v34, 16, 1                                 // 000000009A78: D1C800E2 02052122
	v_add3_u32 v226, v34, v226, v229                           // 000000009A80: D1FF00E2 0797C522
	v_cndmask_b32_e64 v32, v226, v228, s[74:75]                // 000000009A88: D1000020 012BC9E2
	v_lshrrev_b32_e32 v32, 16, v32                             // 000000009A90: 20404090
	v_cmp_u_f32_e64 s[74:75], v35, v35                         // 000000009A94: D048004A 00024723
	v_bfe_u32 v226, v35, 16, 1                                 // 000000009A9C: D1C800E2 02052123
	v_add3_u32 v226, v35, v226, v229                           // 000000009AA4: D1FF00E2 0797C523
	v_cndmask_b32_e64 v33, v226, v228, s[74:75]                // 000000009AAC: D1000021 012BC9E2
	v_and_or_b32 v187, v33, v227, v32                          // 000000009AB4: D20100BB 0483C721
	v_mov_b32_e32 v34, v198                                    // 000000009ABC: 7E4403C6
	v_mov_b32_e32 v35, v199                                    // 000000009AC0: 7E4603C7
	v_cmp_u_f32_e64 s[74:75], v34, v34                         // 000000009AC4: D048004A 00024522
	v_bfe_u32 v226, v34, 16, 1                                 // 000000009ACC: D1C800E2 02052122
	v_add3_u32 v226, v34, v226, v229                           // 000000009AD4: D1FF00E2 0797C522
	v_cndmask_b32_e64 v32, v226, v228, s[74:75]                // 000000009ADC: D1000020 012BC9E2
	v_lshrrev_b32_e32 v32, 16, v32                             // 000000009AE4: 20404090
	v_cmp_u_f32_e64 s[74:75], v35, v35                         // 000000009AE8: D048004A 00024723
	v_bfe_u32 v226, v35, 16, 1                                 // 000000009AF0: D1C800E2 02052123
	v_add3_u32 v226, v35, v226, v229                           // 000000009AF8: D1FF00E2 0797C523
	v_cndmask_b32_e64 v33, v226, v228, s[74:75]                // 000000009B00: D1000021 012BC9E2
	v_and_or_b32 v188, v33, v227, v32                          // 000000009B08: D20100BC 0483C721
	v_mov_b32_e32 v34, v200                                    // 000000009B10: 7E4403C8
	v_mov_b32_e32 v35, v201                                    // 000000009B14: 7E4603C9
	v_cmp_u_f32_e64 s[74:75], v34, v34                         // 000000009B18: D048004A 00024522
	v_bfe_u32 v226, v34, 16, 1                                 // 000000009B20: D1C800E2 02052122
	v_add3_u32 v226, v34, v226, v229                           // 000000009B28: D1FF00E2 0797C522
	v_cndmask_b32_e64 v32, v226, v228, s[74:75]                // 000000009B30: D1000020 012BC9E2
	v_lshrrev_b32_e32 v32, 16, v32                             // 000000009B38: 20404090
	v_cmp_u_f32_e64 s[74:75], v35, v35                         // 000000009B3C: D048004A 00024723
	v_bfe_u32 v226, v35, 16, 1                                 // 000000009B44: D1C800E2 02052123
	v_add3_u32 v226, v35, v226, v229                           // 000000009B4C: D1FF00E2 0797C523
	v_cndmask_b32_e64 v33, v226, v228, s[74:75]                // 000000009B54: D1000021 012BC9E2
	v_and_or_b32 v189, v33, v227, v32                          // 000000009B5C: D20100BD 0483C721
	v_mov_b32_e32 v34, v202                                    // 000000009B64: 7E4403CA
	v_mov_b32_e32 v35, v203                                    // 000000009B68: 7E4603CB
	v_cmp_u_f32_e64 s[74:75], v34, v34                         // 000000009B6C: D048004A 00024522
	v_bfe_u32 v226, v34, 16, 1                                 // 000000009B74: D1C800E2 02052122
	v_add3_u32 v226, v34, v226, v229                           // 000000009B7C: D1FF00E2 0797C522
	v_cndmask_b32_e64 v32, v226, v228, s[74:75]                // 000000009B84: D1000020 012BC9E2
	v_lshrrev_b32_e32 v32, 16, v32                             // 000000009B8C: 20404090
	v_cmp_u_f32_e64 s[74:75], v35, v35                         // 000000009B90: D048004A 00024723
	v_bfe_u32 v226, v35, 16, 1                                 // 000000009B98: D1C800E2 02052123
	v_add3_u32 v226, v35, v226, v229                           // 000000009BA0: D1FF00E2 0797C523
	v_cndmask_b32_e64 v33, v226, v228, s[74:75]                // 000000009BA8: D1000021 012BC9E2
	v_and_or_b32 v190, v33, v227, v32                          // 000000009BB0: D20100BE 0483C721
	v_mov_b32_e32 v34, v204                                    // 000000009BB8: 7E4403CC
	v_mov_b32_e32 v35, v205                                    // 000000009BBC: 7E4603CD
	v_cmp_u_f32_e64 s[74:75], v34, v34                         // 000000009BC0: D048004A 00024522
	v_bfe_u32 v226, v34, 16, 1                                 // 000000009BC8: D1C800E2 02052122
	v_add3_u32 v226, v34, v226, v229                           // 000000009BD0: D1FF00E2 0797C522
	v_cndmask_b32_e64 v32, v226, v228, s[74:75]                // 000000009BD8: D1000020 012BC9E2
	v_lshrrev_b32_e32 v32, 16, v32                             // 000000009BE0: 20404090
	v_cmp_u_f32_e64 s[74:75], v35, v35                         // 000000009BE4: D048004A 00024723
	v_bfe_u32 v226, v35, 16, 1                                 // 000000009BEC: D1C800E2 02052123
	v_add3_u32 v226, v35, v226, v229                           // 000000009BF4: D1FF00E2 0797C523
	v_cndmask_b32_e64 v33, v226, v228, s[74:75]                // 000000009BFC: D1000021 012BC9E2
	v_and_or_b32 v191, v33, v227, v32                          // 000000009C04: D20100BF 0483C721
	v_mov_b32_e32 v34, v206                                    // 000000009C0C: 7E4403CE
	v_mov_b32_e32 v35, v207                                    // 000000009C10: 7E4603CF
	v_cmp_u_f32_e64 s[74:75], v34, v34                         // 000000009C14: D048004A 00024522
	v_bfe_u32 v226, v34, 16, 1                                 // 000000009C1C: D1C800E2 02052122
	v_add3_u32 v226, v34, v226, v229                           // 000000009C24: D1FF00E2 0797C522
	v_cndmask_b32_e64 v32, v226, v228, s[74:75]                // 000000009C2C: D1000020 012BC9E2
	v_lshrrev_b32_e32 v32, 16, v32                             // 000000009C34: 20404090
	v_cmp_u_f32_e64 s[74:75], v35, v35                         // 000000009C38: D048004A 00024723
	v_bfe_u32 v226, v35, 16, 1                                 // 000000009C40: D1C800E2 02052123
	v_add3_u32 v226, v35, v226, v229                           // 000000009C48: D1FF00E2 0797C523
	v_cndmask_b32_e64 v33, v226, v228, s[74:75]                // 000000009C50: D1000021 012BC9E2
	v_and_or_b32 v192, v33, v227, v32                          // 000000009C58: D20100C0 0483C721
	v_mov_b32_e32 v34, v208                                    // 000000009C60: 7E4403D0
	v_mov_b32_e32 v35, v209                                    // 000000009C64: 7E4603D1
	v_cmp_u_f32_e64 s[74:75], v34, v34                         // 000000009C68: D048004A 00024522
	v_bfe_u32 v226, v34, 16, 1                                 // 000000009C70: D1C800E2 02052122
	v_add3_u32 v226, v34, v226, v229                           // 000000009C78: D1FF00E2 0797C522
	v_cndmask_b32_e64 v32, v226, v228, s[74:75]                // 000000009C80: D1000020 012BC9E2
	v_lshrrev_b32_e32 v32, 16, v32                             // 000000009C88: 20404090
	v_cmp_u_f32_e64 s[74:75], v35, v35                         // 000000009C8C: D048004A 00024723
	v_bfe_u32 v226, v35, 16, 1                                 // 000000009C94: D1C800E2 02052123
	v_add3_u32 v226, v35, v226, v229                           // 000000009C9C: D1FF00E2 0797C523
	v_cndmask_b32_e64 v33, v226, v228, s[74:75]                // 000000009CA4: D1000021 012BC9E2
	v_and_or_b32 v193, v33, v227, v32                          // 000000009CAC: D20100C1 0483C721
	ds_write_b64 v27, v[186:187] offset:8704                   // 000000009CB4: D89A2200 0000BA1B
	ds_write_b64 v27, v[188:189] offset:9248                   // 000000009CBC: D89A2420 0000BC1B
	ds_write_b64 v27, v[190:191] offset:9792                   // 000000009CC4: D89A2640 0000BE1B
	ds_write_b64 v27, v[192:193] offset:10336                  // 000000009CCC: D89A2860 0000C01B
	s_waitcnt lgkmcnt(0)                                       // 000000009CD4: BF8CC07F
	s_barrier                                                  // 000000009CD8: BF8A0000
	ds_read_b64 v[186:187], v26 offset:8704                    // 000000009CDC: D8EC2200 BA00001A
	ds_read_b64 v[188:189], v26 offset:8832                    // 000000009CE4: D8EC2280 BC00001A
	ds_read_b64 v[190:191], v26 offset:8768                    // 000000009CEC: D8EC2240 BE00001A
	ds_read_b64 v[192:193], v26 offset:8896                    // 000000009CF4: D8EC22C0 C000001A
	s_waitcnt lgkmcnt(0)                                       // 000000009CFC: BF8CC07F
	s_mov_b32 s70, s53                                         // 000000009D00: BEC60035
	buffer_store_dwordx4 v[186:189], v10, s[40:43], 0 idxen    // 000000009D04: E07C2000 800ABA0A
	s_mul_i32 s60, 2, s70                                      // 000000009D0C: 923C4682
	v_add_u32_e32 v10, s60, v10                                // 000000009D10: 6814143C
	buffer_store_dwordx4 v[190:193], v10, s[40:43], 0 idxen    // 000000009D14: E07C2000 800ABE0A
	s_mul_i32 s60, 2, s70                                      // 000000009D1C: 923C4682
	v_add_u32_e32 v10, s60, v10                                // 000000009D20: 6814143C
	s_mul_i32 s60, 12, s70                                     // 000000009D24: 923C468C
	v_add_u32_e32 v10, s60, v10                                // 000000009D28: 6814143C
	s_cmp_ge_i32 2, s73                                        // 000000009D2C: BF034982
	s_cbranch_scc1 label_18B9                                  // 000000009D30: BF8500C8
	v_mov_b32_e32 v34, v210                                    // 000000009D34: 7E4403D2
	v_mov_b32_e32 v35, v211                                    // 000000009D38: 7E4603D3
	v_cmp_u_f32_e64 s[74:75], v34, v34                         // 000000009D3C: D048004A 00024522
	v_bfe_u32 v226, v34, 16, 1                                 // 000000009D44: D1C800E2 02052122
	v_add3_u32 v226, v34, v226, v229                           // 000000009D4C: D1FF00E2 0797C522
	v_cndmask_b32_e64 v32, v226, v228, s[74:75]                // 000000009D54: D1000020 012BC9E2
	v_lshrrev_b32_e32 v32, 16, v32                             // 000000009D5C: 20404090
	v_cmp_u_f32_e64 s[74:75], v35, v35                         // 000000009D60: D048004A 00024723
	v_bfe_u32 v226, v35, 16, 1                                 // 000000009D68: D1C800E2 02052123
	v_add3_u32 v226, v35, v226, v229                           // 000000009D70: D1FF00E2 0797C523
	v_cndmask_b32_e64 v33, v226, v228, s[74:75]                // 000000009D78: D1000021 012BC9E2
	v_and_or_b32 v194, v33, v227, v32                          // 000000009D80: D20100C2 0483C721
	v_mov_b32_e32 v34, v212                                    // 000000009D88: 7E4403D4
	v_mov_b32_e32 v35, v213                                    // 000000009D8C: 7E4603D5
	v_cmp_u_f32_e64 s[74:75], v34, v34                         // 000000009D90: D048004A 00024522
	v_bfe_u32 v226, v34, 16, 1                                 // 000000009D98: D1C800E2 02052122
	v_add3_u32 v226, v34, v226, v229                           // 000000009DA0: D1FF00E2 0797C522
	v_cndmask_b32_e64 v32, v226, v228, s[74:75]                // 000000009DA8: D1000020 012BC9E2
	v_lshrrev_b32_e32 v32, 16, v32                             // 000000009DB0: 20404090
	v_cmp_u_f32_e64 s[74:75], v35, v35                         // 000000009DB4: D048004A 00024723
	v_bfe_u32 v226, v35, 16, 1                                 // 000000009DBC: D1C800E2 02052123
	v_add3_u32 v226, v35, v226, v229                           // 000000009DC4: D1FF00E2 0797C523
	v_cndmask_b32_e64 v33, v226, v228, s[74:75]                // 000000009DCC: D1000021 012BC9E2
	v_and_or_b32 v195, v33, v227, v32                          // 000000009DD4: D20100C3 0483C721
	v_mov_b32_e32 v34, v214                                    // 000000009DDC: 7E4403D6
	v_mov_b32_e32 v35, v215                                    // 000000009DE0: 7E4603D7
	v_cmp_u_f32_e64 s[74:75], v34, v34                         // 000000009DE4: D048004A 00024522
	v_bfe_u32 v226, v34, 16, 1                                 // 000000009DEC: D1C800E2 02052122
	v_add3_u32 v226, v34, v226, v229                           // 000000009DF4: D1FF00E2 0797C522
	v_cndmask_b32_e64 v32, v226, v228, s[74:75]                // 000000009DFC: D1000020 012BC9E2
	v_lshrrev_b32_e32 v32, 16, v32                             // 000000009E04: 20404090
	v_cmp_u_f32_e64 s[74:75], v35, v35                         // 000000009E08: D048004A 00024723
	v_bfe_u32 v226, v35, 16, 1                                 // 000000009E10: D1C800E2 02052123
	v_add3_u32 v226, v35, v226, v229                           // 000000009E18: D1FF00E2 0797C523
	v_cndmask_b32_e64 v33, v226, v228, s[74:75]                // 000000009E20: D1000021 012BC9E2
	v_and_or_b32 v196, v33, v227, v32                          // 000000009E28: D20100C4 0483C721
	v_mov_b32_e32 v34, v216                                    // 000000009E30: 7E4403D8
	v_mov_b32_e32 v35, v217                                    // 000000009E34: 7E4603D9
	v_cmp_u_f32_e64 s[74:75], v34, v34                         // 000000009E38: D048004A 00024522
	v_bfe_u32 v226, v34, 16, 1                                 // 000000009E40: D1C800E2 02052122
	v_add3_u32 v226, v34, v226, v229                           // 000000009E48: D1FF00E2 0797C522
	v_cndmask_b32_e64 v32, v226, v228, s[74:75]                // 000000009E50: D1000020 012BC9E2
	v_lshrrev_b32_e32 v32, 16, v32                             // 000000009E58: 20404090
	v_cmp_u_f32_e64 s[74:75], v35, v35                         // 000000009E5C: D048004A 00024723
	v_bfe_u32 v226, v35, 16, 1                                 // 000000009E64: D1C800E2 02052123
	v_add3_u32 v226, v35, v226, v229                           // 000000009E6C: D1FF00E2 0797C523
	v_cndmask_b32_e64 v33, v226, v228, s[74:75]                // 000000009E74: D1000021 012BC9E2
	v_and_or_b32 v197, v33, v227, v32                          // 000000009E7C: D20100C5 0483C721
	v_mov_b32_e32 v34, v218                                    // 000000009E84: 7E4403DA
	v_mov_b32_e32 v35, v219                                    // 000000009E88: 7E4603DB
	v_cmp_u_f32_e64 s[74:75], v34, v34                         // 000000009E8C: D048004A 00024522
	v_bfe_u32 v226, v34, 16, 1                                 // 000000009E94: D1C800E2 02052122
	v_add3_u32 v226, v34, v226, v229                           // 000000009E9C: D1FF00E2 0797C522
	v_cndmask_b32_e64 v32, v226, v228, s[74:75]                // 000000009EA4: D1000020 012BC9E2
	v_lshrrev_b32_e32 v32, 16, v32                             // 000000009EAC: 20404090
	v_cmp_u_f32_e64 s[74:75], v35, v35                         // 000000009EB0: D048004A 00024723
	v_bfe_u32 v226, v35, 16, 1                                 // 000000009EB8: D1C800E2 02052123
	v_add3_u32 v226, v35, v226, v229                           // 000000009EC0: D1FF00E2 0797C523
	v_cndmask_b32_e64 v33, v226, v228, s[74:75]                // 000000009EC8: D1000021 012BC9E2
	v_and_or_b32 v198, v33, v227, v32                          // 000000009ED0: D20100C6 0483C721
	v_mov_b32_e32 v34, v220                                    // 000000009ED8: 7E4403DC
	v_mov_b32_e32 v35, v221                                    // 000000009EDC: 7E4603DD
	v_cmp_u_f32_e64 s[74:75], v34, v34                         // 000000009EE0: D048004A 00024522
	v_bfe_u32 v226, v34, 16, 1                                 // 000000009EE8: D1C800E2 02052122
	v_add3_u32 v226, v34, v226, v229                           // 000000009EF0: D1FF00E2 0797C522
	v_cndmask_b32_e64 v32, v226, v228, s[74:75]                // 000000009EF8: D1000020 012BC9E2
	v_lshrrev_b32_e32 v32, 16, v32                             // 000000009F00: 20404090
	v_cmp_u_f32_e64 s[74:75], v35, v35                         // 000000009F04: D048004A 00024723
	v_bfe_u32 v226, v35, 16, 1                                 // 000000009F0C: D1C800E2 02052123
	v_add3_u32 v226, v35, v226, v229                           // 000000009F14: D1FF00E2 0797C523
	v_cndmask_b32_e64 v33, v226, v228, s[74:75]                // 000000009F1C: D1000021 012BC9E2
	v_and_or_b32 v199, v33, v227, v32                          // 000000009F24: D20100C7 0483C721
	v_mov_b32_e32 v34, v222                                    // 000000009F2C: 7E4403DE
	v_mov_b32_e32 v35, v223                                    // 000000009F30: 7E4603DF
	v_cmp_u_f32_e64 s[74:75], v34, v34                         // 000000009F34: D048004A 00024522
	v_bfe_u32 v226, v34, 16, 1                                 // 000000009F3C: D1C800E2 02052122
	v_add3_u32 v226, v34, v226, v229                           // 000000009F44: D1FF00E2 0797C522
	v_cndmask_b32_e64 v32, v226, v228, s[74:75]                // 000000009F4C: D1000020 012BC9E2
	v_lshrrev_b32_e32 v32, 16, v32                             // 000000009F54: 20404090
	v_cmp_u_f32_e64 s[74:75], v35, v35                         // 000000009F58: D048004A 00024723
	v_bfe_u32 v226, v35, 16, 1                                 // 000000009F60: D1C800E2 02052123
	v_add3_u32 v226, v35, v226, v229                           // 000000009F68: D1FF00E2 0797C523
	v_cndmask_b32_e64 v33, v226, v228, s[74:75]                // 000000009F70: D1000021 012BC9E2
	v_and_or_b32 v200, v33, v227, v32                          // 000000009F78: D20100C8 0483C721
	v_mov_b32_e32 v34, v224                                    // 000000009F80: 7E4403E0
	v_mov_b32_e32 v35, v225                                    // 000000009F84: 7E4603E1
	v_cmp_u_f32_e64 s[74:75], v34, v34                         // 000000009F88: D048004A 00024522
	v_bfe_u32 v226, v34, 16, 1                                 // 000000009F90: D1C800E2 02052122
	v_add3_u32 v226, v34, v226, v229                           // 000000009F98: D1FF00E2 0797C522
	v_cndmask_b32_e64 v32, v226, v228, s[74:75]                // 000000009FA0: D1000020 012BC9E2
	v_lshrrev_b32_e32 v32, 16, v32                             // 000000009FA8: 20404090
	v_cmp_u_f32_e64 s[74:75], v35, v35                         // 000000009FAC: D048004A 00024723
	v_bfe_u32 v226, v35, 16, 1                                 // 000000009FB4: D1C800E2 02052123
	v_add3_u32 v226, v35, v226, v229                           // 000000009FBC: D1FF00E2 0797C523
	v_cndmask_b32_e64 v33, v226, v228, s[74:75]                // 000000009FC4: D1000021 012BC9E2
	v_and_or_b32 v201, v33, v227, v32                          // 000000009FCC: D20100C9 0483C721
	ds_write_b64 v27, v[194:195] offset:17408                  // 000000009FD4: D89A4400 0000C21B
	ds_write_b64 v27, v[196:197] offset:17952                  // 000000009FDC: D89A4620 0000C41B
	ds_write_b64 v27, v[198:199] offset:18496                  // 000000009FE4: D89A4840 0000C61B
	ds_write_b64 v27, v[200:201] offset:19040                  // 000000009FEC: D89A4A60 0000C81B
	s_waitcnt lgkmcnt(0)                                       // 000000009FF4: BF8CC07F
	s_barrier                                                  // 000000009FF8: BF8A0000
	ds_read_b64 v[194:195], v26 offset:17408                   // 000000009FFC: D8EC4400 C200001A
	ds_read_b64 v[196:197], v26 offset:17536                   // 00000000A004: D8EC4480 C400001A
	ds_read_b64 v[198:199], v26 offset:17472                   // 00000000A00C: D8EC4440 C600001A
	ds_read_b64 v[200:201], v26 offset:17600                   // 00000000A014: D8EC44C0 C800001A
	s_waitcnt lgkmcnt(0)                                       // 00000000A01C: BF8CC07F
	s_mov_b32 s70, s53                                         // 00000000A020: BEC60035
	buffer_store_dwordx4 v[194:197], v10, s[40:43], 0 idxen    // 00000000A024: E07C2000 800AC20A
	s_mul_i32 s60, 2, s70                                      // 00000000A02C: 923C4682
	v_add_u32_e32 v10, s60, v10                                // 00000000A030: 6814143C
	buffer_store_dwordx4 v[198:201], v10, s[40:43], 0 idxen    // 00000000A034: E07C2000 800AC60A
	s_mul_i32 s60, 2, s70                                      // 00000000A03C: 923C4682
	v_add_u32_e32 v10, s60, v10                                // 00000000A040: 6814143C
	s_mul_i32 s60, 12, s70                                     // 00000000A044: 923C468C
	v_add_u32_e32 v10, s60, v10                                // 00000000A048: 6814143C
	s_cmp_ge_i32 3, s73                                        // 00000000A04C: BF034983
	s_cbranch_scc1 label_18B9                                  // 00000000A050: BF850000

000000000000a054 <label_18B9>:
	s_waitcnt vmcnt(0) expcnt(0) lgkmcnt(0)                    // 00000000A054: BF8C0000
	s_endpgm                                                   // 00000000A058: BF810000
